;; amdgpu-corpus repo=ROCm/aiter kind=harvested arch=n/a opt=n/a

/root/src/amdgpu-assembly/repos/ROCm__aiter/hsa/gfx950/fmoe/silu/fmoe_fp16_pertokenFp8_g1u1_vs_tkw1_silu_1tg_ps_32x128.co:	file format elf64-amdgpu

Disassembly of section .text:

0000000000002e00 <_ZN5aiter53fmoe_fp16_pertokenFp8_g1u1_vs_tkw1_silu_1tg_ps_32x128E>:
	v_lshrrev_b32_e32 v1, 10, v0                               // 000000002E00: 2002008A
	v_lshrrev_b32_e32 v2, 10, v1                               // 000000002E04: 2004028A
	v_and_b32_e32 v2, 0x3ff, v2                                // 000000002E08: 260404FF 000003FF
	v_and_b32_e32 v1, 0x3ff, v1                                // 000000002E10: 260202FF 000003FF
	v_and_b32_e32 v0, 0x3ff, v0                                // 000000002E18: 260000FF 000003FF
	v_lshrrev_b32_e32 v3, 6, v0                                // 000000002E20: 20060086
	v_and_b32_e32 v0, 63, v0                                   // 000000002E24: 260000BF
	s_mov_b32 s2, s2                                           // 000000002E28: BE820002
	s_mov_b32 s3, s3                                           // 000000002E2C: BE830003
	s_mov_b32 s4, s4                                           // 000000002E30: BE840004
	s_mov_b32 s99, s2                                          // 000000002E34: BEE30002
	v_readfirstlane_b32 s7, v3                                 // 000000002E38: 7E0E0503
	s_and_b32 s1, s1, 0xffff                                   // 000000002E3C: 8601FF01 0000FFFF
	s_mov_b32 s96, 0                                           // 000000002E44: BEE00080
	s_mov_b32 s97, 0                                           // 000000002E48: BEE10080
	s_mov_b32 s100, 0                                          // 000000002E4C: BEE40080
	s_load_dword s96, s[0:1], 0x1a0                            // 000000002E50: C0021800 000001A0
	s_load_dword s97, s[0:1], 0x1b0                            // 000000002E58: C0021840 000001B0
	s_waitcnt lgkmcnt(0)                                       // 000000002E60: BF8CC07F
	s_cmp_eq_u32 s96, 0                                        // 000000002E64: BF068060
	s_cbranch_scc1 label_005C                                  // 000000002E68: BF850041
	v_cvt_f32_u32_e32 v44, s97                                 // 000000002E6C: 7E580C61
	s_sub_i32 s60, 0, s97                                      // 000000002E70: 81BC6180
	v_rcp_iflag_f32_e32 v44, v44                               // 000000002E74: 7E58472C
	s_nop 0                                                    // 000000002E78: BF800000
	v_mul_f32_e32 v44, 0x4f7ffffe, v44                         // 000000002E7C: 0A5858FF 4F7FFFFE
	v_cvt_u32_f32_e32 v44, v44                                 // 000000002E84: 7E580F2C
	v_mul_lo_u32 v45, s60, v44                                 // 000000002E88: D285002D 0002583C
	v_mul_hi_u32 v45, v44, v45                                 // 000000002E90: D286002D 00025B2C
	v_add_u32_e32 v44, v44, v45                                // 000000002E98: 68585B2C
	v_mul_hi_u32 v44, s96, v44                                 // 000000002E9C: D286002C 00025860
	v_mul_lo_u32 v45, v44, s97                                 // 000000002EA4: D285002D 0000C32C
	v_sub_u32_e32 v47, s96, v45                                // 000000002EAC: 6A5E5A60
	v_add_u32_e32 v46, 1, v44                                  // 000000002EB0: 685C5881
	v_cmp_le_u32_e32 vcc, s97, v47                             // 000000002EB4: 7D965E61
	v_subrev_u32_e32 v45, s97, v47                             // 000000002EB8: 6C5A5E61
	s_nop 0                                                    // 000000002EBC: BF800000
	v_cndmask_b32_e32 v44, v44, v46, vcc                       // 000000002EC0: 00585D2C
	v_cndmask_b32_e32 v47, v47, v45, vcc                       // 000000002EC4: 005E5B2F
	v_add_u32_e32 v45, 1, v44                                  // 000000002EC8: 685A5881
	v_cmp_le_u32_e32 vcc, s97, v47                             // 000000002ECC: 7D965E61
	s_nop 1                                                    // 000000002ED0: BF800001
	v_cndmask_b32_e32 v47, v44, v45, vcc                       // 000000002ED4: 005E5B2C
	s_nop 3                                                    // 000000002ED8: BF800003
	v_readfirstlane_b32 s98, v47                               // 000000002EDC: 7EC4052F
	s_nop 3                                                    // 000000002EE0: BF800003

0000000000002ee4 <label_0039>:
	s_mov_b32 s4, 0                                            // 000000002EE4: BE840080
	v_cvt_f32_u32_e32 v44, s97                                 // 000000002EE8: 7E580C61
	s_sub_i32 s60, 0, s97                                      // 000000002EEC: 81BC6180
	v_rcp_iflag_f32_e32 v44, v44                               // 000000002EF0: 7E58472C
	s_nop 0                                                    // 000000002EF4: BF800000
	v_mul_f32_e32 v44, 0x4f7ffffe, v44                         // 000000002EF8: 0A5858FF 4F7FFFFE
	v_cvt_u32_f32_e32 v44, v44                                 // 000000002F00: 7E580F2C
	v_mul_lo_u32 v45, s60, v44                                 // 000000002F04: D285002D 0002583C
	v_mul_hi_u32 v45, v44, v45                                 // 000000002F0C: D286002D 00025B2C
	v_add_u32_e32 v44, v44, v45                                // 000000002F14: 68585B2C
	v_mul_hi_u32 v44, s99, v44                                 // 000000002F18: D286002C 00025863
	v_mul_lo_u32 v45, v44, s97                                 // 000000002F20: D285002D 0000C32C
	v_sub_u32_e32 v47, s99, v45                                // 000000002F28: 6A5E5A63
	v_add_u32_e32 v46, 1, v44                                  // 000000002F2C: 685C5881
	v_cmp_le_u32_e32 vcc, s97, v47                             // 000000002F30: 7D965E61
	v_subrev_u32_e32 v45, s97, v47                             // 000000002F34: 6C5A5E61
	s_nop 0                                                    // 000000002F38: BF800000
	v_cndmask_b32_e32 v44, v44, v46, vcc                       // 000000002F3C: 00585D2C
	v_cndmask_b32_e32 v47, v47, v45, vcc                       // 000000002F40: 005E5B2F
	v_add_u32_e32 v45, 1, v44                                  // 000000002F44: 685A5881
	v_cmp_le_u32_e32 vcc, s97, v47                             // 000000002F48: 7D965E61
	s_nop 1                                                    // 000000002F4C: BF800001
	v_cndmask_b32_e32 v47, v44, v45, vcc                       // 000000002F50: 005E5B2C
	s_nop 3                                                    // 000000002F54: BF800003
	v_readfirstlane_b32 s3, v47                                // 000000002F58: 7E06052F
	s_nop 3                                                    // 000000002F5C: BF800003
	s_mul_i32 s60, s3, s97                                     // 000000002F60: 923C6103
	s_sub_u32 s2, s99, s60                                     // 000000002F64: 80823C63
	s_mul_i32 s60, s98, s100                                   // 000000002F68: 923C6462
	s_add_i32 s3, s3, s60                                      // 000000002F6C: 81033C03

0000000000002f70 <label_005C>:
	s_and_b32 s1, s1, 0xffff                                   // 000000002F70: 8601FF01 0000FFFF
	s_load_dwordx2 s[8:9], s[0:1], 0x0                         // 000000002F78: C0060200 00000000
	s_load_dwordx2 s[20:21], s[0:1], 0x10                      // 000000002F80: C0060500 00000010
	s_load_dwordx2 s[24:25], s[0:1], 0x20                      // 000000002F88: C0060600 00000020
	s_load_dwordx2 s[50:51], s[0:1], 0x30                      // 000000002F90: C0060C80 00000030
	s_load_dwordx2 s[12:13], s[0:1], 0x40                      // 000000002F98: C0060300 00000040
	s_load_dwordx2 s[28:29], s[0:1], 0x50                      // 000000002FA0: C0060700 00000050
	s_load_dwordx2 s[32:33], s[0:1], 0x60                      // 000000002FA8: C0060800 00000060
	s_load_dwordx2 s[16:17], s[0:1], 0x70                      // 000000002FB0: C0060400 00000070
	s_load_dwordx2 s[36:37], s[0:1], 0x80                      // 000000002FB8: C0060900 00000080
	s_load_dwordx2 s[44:45], s[0:1], 0x90                      // 000000002FC0: C0060B00 00000090
	s_load_dwordx2 s[40:41], s[0:1], 0xa0                      // 000000002FC8: C0060A00 000000A0
	s_load_dwordx2 s[46:47], s[0:1], 0xb0                      // 000000002FD0: C0060B80 000000B0
	s_load_dword s64, s[0:1], 0xc0                             // 000000002FD8: C0021000 000000C0
	s_load_dword s65, s[0:1], 0xd0                             // 000000002FE0: C0021040 000000D0
	s_load_dword s67, s[0:1], 0xf0                             // 000000002FE8: C00210C0 000000F0
	s_load_dword s68, s[0:1], 0x100                            // 000000002FF0: C0021100 00000100
	s_load_dword s69, s[0:1], 0x110                            // 000000002FF8: C0021140 00000110
	s_load_dword s70, s[0:1], 0x120                            // 000000003000: C0021180 00000120
	s_load_dword s71, s[0:1], 0x130                            // 000000003008: C00211C0 00000130
	s_load_dword s72, s[0:1], 0x140                            // 000000003010: C0021200 00000140
	s_load_dword s73, s[0:1], 0x150                            // 000000003018: C0021240 00000150
	s_load_dword s74, s[0:1], 0x160                            // 000000003020: C0021280 00000160
	s_load_dword s75, s[0:1], 0x170                            // 000000003028: C00212C0 00000170
	s_load_dword s76, s[0:1], 0x180                            // 000000003030: C0021300 00000180
	s_mov_b32 s2, s2                                           // 000000003038: BE820002
	s_mov_b32 s3, s3                                           // 00000000303C: BE830003
	s_mov_b32 s4, s4                                           // 000000003040: BE840004
	s_waitcnt lgkmcnt(0)                                       // 000000003044: BF8CC07F
	s_and_b32 s51, s51, 0xffff                                 // 000000003048: 8633FF33 0000FFFF
	s_load_dword s66, s[50:51], 0x4                            // 000000003050: C0021099 00000004
	s_load_dword s50, s[50:51], 0x0                            // 000000003058: C0020C99 00000000
	s_waitcnt lgkmcnt(0)                                       // 000000003060: BF8CC07F
	s_and_b32 s45, s45, 0xffff                                 // 000000003064: 862DFF2D 0000FFFF
	s_and_b32 s47, s47, 0xffff                                 // 00000000306C: 862FFF2F 0000FFFF
	s_and_b32 s9, s9, 0xffff                                   // 000000003074: 8609FF09 0000FFFF
	s_mul_i32 s60, s66, s68                                    // 00000000307C: 923C4442
	s_mul_i32 s61, s66, 4                                      // 000000003080: 923D8442
	s_mov_b32 s22, s60                                         // 000000003084: BE96003C
	s_mov_b32 s26, 0x80000000                                  // 000000003088: BE9A00FF 80000000
	s_mov_b32 s14, 0x80000000                                  // 000000003090: BE8E00FF 80000000
	s_mov_b32 s42, 0x80000000                                  // 000000003098: BEAA00FF 80000000
	s_mov_b32 s30, s61                                         // 0000000030A0: BE9E003D
	s_mov_b32 s34, 0x200                                       // 0000000030A4: BEA200FF 00000200
	s_mov_b32 s38, 0x200                                       // 0000000030AC: BEA600FF 00000200
	s_mov_b32 s18, 0x80000000                                  // 0000000030B4: BE9200FF 80000000
	s_mov_b32 s23, 0x20000                                     // 0000000030BC: BE9700FF 00020000
	s_mov_b32 s27, 0x20000                                     // 0000000030C4: BE9B00FF 00020000
	s_mov_b32 s15, 0x20000                                     // 0000000030CC: BE8F00FF 00020000
	s_mov_b32 s43, 0x20000                                     // 0000000030D4: BEAB00FF 00020000
	s_mov_b32 s31, 0x20000                                     // 0000000030DC: BE9F00FF 00020000
	s_mov_b32 s35, 0x20000                                     // 0000000030E4: BEA300FF 00020000
	s_mov_b32 s39, 0x20000                                     // 0000000030EC: BEA700FF 00020000
	s_mov_b32 s19, 0x20000                                     // 0000000030F4: BE9300FF 00020000
	s_and_b32 s21, s21, 0xffff                                 // 0000000030FC: 8615FF15 0000FFFF
	s_and_b32 s25, s25, 0xffff                                 // 000000003104: 8619FF19 0000FFFF
	s_and_b32 s13, s13, 0xffff                                 // 00000000310C: 860DFF0D 0000FFFF
	s_and_b32 s41, s41, 0xffff                                 // 000000003114: 8629FF29 0000FFFF
	s_and_b32 s29, s29, 0xffff                                 // 00000000311C: 861DFF1D 0000FFFF
	s_and_b32 s33, s33, 0xffff                                 // 000000003124: 8621FF21 0000FFFF
	s_and_b32 s37, s37, 0xffff                                 // 00000000312C: 8625FF25 0000FFFF
	s_and_b32 s17, s17, 0xffff                                 // 000000003134: 8611FF11 0000FFFF
	s_or_b32 s21, s21, 0x40000                                 // 00000000313C: 8715FF15 00040000
	s_or_b32 s25, s25, 0x40000                                 // 000000003144: 8719FF19 00040000
	s_or_b32 s13, s13, 0x40000                                 // 00000000314C: 870DFF0D 00040000
	s_or_b32 s41, s41, 0x40000                                 // 000000003154: 8729FF29 00040000
	s_or_b32 s29, s29, 0x40000                                 // 00000000315C: 871DFF1D 00040000
	s_or_b32 s33, s33, 0x40000                                 // 000000003164: 8721FF21 00040000
	s_or_b32 s37, s37, 0x40000                                 // 00000000316C: 8725FF25 00040000
	s_or_b32 s17, s17, 0x40000                                 // 000000003174: 8711FF11 00040000
	v_accvgpr_write_b32 a63, 0                                 // 00000000317C: D3D9403F 18000080
	v_mov_b32_e32 v207, 0                                      // 000000003184: 7F9E0280
	s_waitcnt lgkmcnt(0)                                       // 000000003188: BF8CC07F
	s_mul_i32 s60, s3, 32                                      // 00000000318C: 923CA003
	s_cmp_lt_i32 s60, s50                                      // 000000003190: BF04323C
	s_cbranch_scc0 label_0F6B                                  // 000000003194: BF840E85
	s_mov_b32 s80, 0                                           // 000000003198: BED00080
	s_mov_b32 s81, s64                                         // 00000000319C: BED10040
	s_mul_i32 s60, s3, 4                                       // 0000000031A0: 923C8403
	s_add_u32 s46, s60, s46                                    // 0000000031A4: 802E2E3C
	s_addc_u32 s47, 0, s47                                     // 0000000031A8: 822F2F80
	s_load_dword s5, s[46:47], 0x0                             // 0000000031AC: C0020157 00000000
	s_mul_i32 s60, s3, 32                                      // 0000000031B4: 923CA003
	s_mul_i32 s60, 4, s60                                      // 0000000031B8: 923C3C84
	v_and_b32_e32 v44, 15, v0                                  // 0000000031BC: 2658008F
	v_lshlrev_b32_e32 v44, 2, v44                              // 0000000031C0: 24585882
	v_add_u32_e32 v44, s60, v44                                // 0000000031C4: 6858583C
	v_mov_b32_e32 v45, 0                                       // 0000000031C8: 7E5A0280
	global_load_dword v6, v44, s[44:45]                        // 0000000031CC: DC508000 062C002C
	v_add_u32_e32 v44, 64, v44                                 // 0000000031D4: 685858C0
	global_load_dword v7, v44, s[44:45]                        // 0000000031D8: DC508000 072C002C
	s_mul_i32 s60, s3, 32                                      // 0000000031E0: 923CA003
	s_add_u32 s60, s7, s60                                     // 0000000031E4: 803C3C07
	s_mul_i32 s60, 4, s60                                      // 0000000031E8: 923C3C84
	s_add_u32 s44, s60, s44                                    // 0000000031EC: 802C2C3C
	s_addc_u32 s45, 0, s45                                     // 0000000031F0: 822D2D80
	s_load_dword s82, s[44:45], 0x0                            // 0000000031F4: C0021496 00000000
	s_load_dword s83, s[44:45], 0x10                           // 0000000031FC: C00214D6 00000010
	s_load_dword s84, s[44:45], 0x20                           // 000000003204: C0021516 00000020
	s_load_dword s85, s[44:45], 0x30                           // 00000000320C: C0021556 00000030
	s_load_dword s86, s[44:45], 0x40                           // 000000003214: C0021596 00000040
	s_load_dword s87, s[44:45], 0x50                           // 00000000321C: C00215D6 00000050
	s_load_dword s88, s[44:45], 0x60                           // 000000003224: C0021616 00000060
	s_load_dword s89, s[44:45], 0x70                           // 00000000322C: C0021656 00000070
	s_waitcnt lgkmcnt(0)                                       // 000000003234: BF8CC07F
	v_lshlrev_b32_e32 v44, 2, v0                               // 000000003238: 24580082
	s_and_b32 s82, s82, 0xffffff                               // 00000000323C: 8652FF52 00FFFFFF
	s_mul_i32 s60, s82, s68                                    // 000000003244: 923C4452
	v_add_u32_e64 v24, v44, s60                                // 000000003248: D1340018 0000792C
	s_and_b32 s83, s83, 0xffffff                               // 000000003250: 8653FF53 00FFFFFF
	s_mul_i32 s60, s83, s68                                    // 000000003258: 923C4453
	v_add_u32_e64 v25, v44, s60                                // 00000000325C: D1340019 0000792C
	s_and_b32 s84, s84, 0xffffff                               // 000000003264: 8654FF54 00FFFFFF
	s_mul_i32 s60, s84, s68                                    // 00000000326C: 923C4454
	v_add_u32_e64 v26, v44, s60                                // 000000003270: D134001A 0000792C
	s_and_b32 s85, s85, 0xffffff                               // 000000003278: 8655FF55 00FFFFFF
	s_mul_i32 s60, s85, s68                                    // 000000003280: 923C4455
	v_add_u32_e64 v27, v44, s60                                // 000000003284: D134001B 0000792C
	s_and_b32 s86, s86, 0xffffff                               // 00000000328C: 8656FF56 00FFFFFF
	s_mul_i32 s60, s86, s68                                    // 000000003294: 923C4456
	v_add_u32_e64 v28, v44, s60                                // 000000003298: D134001C 0000792C
	s_and_b32 s87, s87, 0xffffff                               // 0000000032A0: 8657FF57 00FFFFFF
	s_mul_i32 s60, s87, s68                                    // 0000000032A8: 923C4457
	v_add_u32_e64 v29, v44, s60                                // 0000000032AC: D134001D 0000792C
	s_and_b32 s88, s88, 0xffffff                               // 0000000032B4: 8658FF58 00FFFFFF
	s_mul_i32 s60, s88, s68                                    // 0000000032BC: 923C4458
	v_add_u32_e64 v30, v44, s60                                // 0000000032C0: D134001E 0000792C
	s_and_b32 s89, s89, 0xffffff                               // 0000000032C8: 8659FF59 00FFFFFF
	s_mul_i32 s60, s89, s68                                    // 0000000032D0: 923C4459
	v_add_u32_e64 v31, v44, s60                                // 0000000032D4: D134001F 0000792C
	v_lshlrev_b32_e32 v44, 2, v0                               // 0000000032DC: 24580082
	s_mul_i32 s60, s82, s71                                    // 0000000032E0: 923C4752
	v_add_u32_e64 v80, v44, s60                                // 0000000032E4: D1340050 0000792C
	v_mov_b32_e32 v81, 0                                       // 0000000032EC: 7EA20280
	s_mul_i32 s60, s83, s71                                    // 0000000032F0: 923C4753
	v_add_u32_e64 v82, v44, s60                                // 0000000032F4: D1340052 0000792C
	v_mov_b32_e32 v83, 0                                       // 0000000032FC: 7EA60280
	s_mul_i32 s60, s84, s71                                    // 000000003300: 923C4754
	v_add_u32_e64 v84, v44, s60                                // 000000003304: D1340054 0000792C
	v_mov_b32_e32 v85, 0                                       // 00000000330C: 7EAA0280
	s_mul_i32 s60, s85, s71                                    // 000000003310: 923C4755
	v_add_u32_e64 v86, v44, s60                                // 000000003314: D1340056 0000792C
	v_mov_b32_e32 v87, 0                                       // 00000000331C: 7EAE0280
	s_mul_i32 s60, s86, s71                                    // 000000003320: 923C4756
	v_add_u32_e64 v88, v44, s60                                // 000000003324: D1340058 0000792C
	v_mov_b32_e32 v89, 0                                       // 00000000332C: 7EB20280
	s_mul_i32 s60, s87, s71                                    // 000000003330: 923C4757
	v_add_u32_e64 v90, v44, s60                                // 000000003334: D134005A 0000792C
	v_mov_b32_e32 v91, 0                                       // 00000000333C: 7EB60280
	s_mul_i32 s60, s88, s71                                    // 000000003340: 923C4758
	v_add_u32_e64 v92, v44, s60                                // 000000003344: D134005C 0000792C
	v_mov_b32_e32 v93, 0                                       // 00000000334C: 7EBA0280
	s_mul_i32 s60, s89, s71                                    // 000000003350: 923C4759
	v_add_u32_e64 v94, v44, s60                                // 000000003354: D134005E 0000792C
	v_mov_b32_e32 v95, 0                                       // 00000000335C: 7EBE0280
	s_mul_i32 s60, s7, 0x820                                   // 000000003360: 923CFF07 00000820
	s_add_u32 s50, 0, s60                                      // 000000003368: 80323C80
	s_add_u32 s51, 0x2080, s50                                 // 00000000336C: 803332FF 00002080
	v_lshrrev_b32_e32 v44, 4, v0                               // 000000003374: 20580084
	v_lshlrev_b32_e32 v45, 2, v44                              // 000000003378: 245A5882
	v_and_b32_e32 v44, 15, v0                                  // 00000000337C: 2658008F
	v_lshrrev_b32_e32 v46, 2, v44                              // 000000003380: 205C5882
	v_lshlrev_b32_e32 v46, 6, v46                              // 000000003384: 245C5C86
	v_add_u32_e32 v45, v46, v45                                // 000000003388: 685A5B2E
	v_and_b32_e32 v44, 3, v0                                   // 00000000338C: 26580083
	v_mul_i32_i24_e32 v46, 0x208, v44                          // 000000003390: 0C5C58FF 00000208
	v_add_u32_e32 v45, v46, v45                                // 000000003398: 685A5B2E
	v_lshlrev_b32_e32 v2, 2, v45                               // 00000000339C: 24045A82
	s_mul_i32 s60, s2, 0x80                                    // 0000000033A0: 923CFF02 00000080
	s_mul_i32 s60, s60, s69                                    // 0000000033A8: 923C453C
	s_mul_i32 s61, s5, s72                                     // 0000000033AC: 923D4805
	s_add_u32 s60, s61, s60                                    // 0000000033B0: 803C3C3D
	s_add_u32 s24, s60, s24                                    // 0000000033B4: 8018183C
	s_addc_u32 s25, 0, s25                                     // 0000000033B8: 82191980
	s_mul_i32 s60, s7, 16                                      // 0000000033BC: 923C9007
	s_mul_i32 s60, s60, s69                                    // 0000000033C0: 923C453C
	v_lshlrev_b32_e32 v32, 4, v0                               // 0000000033C4: 24400084
	v_add_u32_e32 v32, s60, v32                                // 0000000033C8: 6840403C
	s_mul_i32 s60, 64, s69                                     // 0000000033CC: 923C45C0
	v_add_u32_e32 v33, s60, v32                                // 0000000033D0: 6842403C
	s_mov_b32 s92, s24                                         // 0000000033D4: BEDC0018
	s_mov_b32 s93, s25                                         // 0000000033D8: BEDD0019
	s_mov_b32 s94, s26                                         // 0000000033DC: BEDE001A
	s_mov_b32 s95, s27                                         // 0000000033E0: BEDF001B
	s_mul_i32 s60, s69, s65                                    // 0000000033E4: 923C4145
	s_add_u32 s92, s60, s92                                    // 0000000033E8: 805C5C3C
	s_addc_u32 s93, 0, s93                                     // 0000000033EC: 825D5D80
	s_mul_i32 s60, s2, 0x800                                   // 0000000033F0: 923CFF02 00000800
	s_mul_i32 s61, s5, s73                                     // 0000000033F8: 923D4905
	s_add_u32 s60, s61, s60                                    // 0000000033FC: 803C3C3D
	s_add_u32 s12, s60, s12                                    // 000000003400: 800C0C3C
	s_addc_u32 s13, 0, s13                                     // 000000003404: 820D0D80
	s_mul_i32 s60, s7, 16                                      // 000000003408: 923C9007
	s_mul_i32 s60, s60, s70                                    // 00000000340C: 923C463C
	v_lshlrev_b32_e32 v34, 4, v0                               // 000000003410: 24440084
	v_add_u32_e32 v34, s60, v34                                // 000000003414: 6844443C
	s_mul_i32 s60, 64, s70                                     // 000000003418: 923C46C0
	v_add_u32_e32 v35, s60, v34                                // 00000000341C: 6846443C
	v_add_u32_e32 v36, s60, v35                                // 000000003420: 6848463C
	v_add_u32_e32 v37, s60, v36                                // 000000003424: 684A483C
	s_mul_i32 s60, s70, 0x100                                  // 000000003428: 923CFF46 00000100
	s_mov_b32 s78, 0x400                                       // 000000003430: BECE00FF 00000400
	s_mul_i32 s61, s78, 1                                      // 000000003438: 923D814E
	s_sub_u32 s56, s60, s61                                    // 00000000343C: 80B83D3C
	s_mul_i32 s60, s3, 32                                      // 000000003440: 923CA003
	s_mul_i32 s60, 4, s60                                      // 000000003444: 923C3C84
	s_add_u32 s40, s60, s40                                    // 000000003448: 8028283C
	s_addc_u32 s41, 0, s41                                     // 00000000344C: 82292980
	v_and_b32_e32 v44, 15, v0                                  // 000000003450: 2658008F
	v_lshlrev_b32_e32 v8, 2, v44                               // 000000003454: 24105882
	v_add_u32_e32 v9, 64, v8                                   // 000000003458: 681210C0
	v_lshrrev_b32_e32 v44, 4, v0                               // 00000000345C: 20580084
	v_lshlrev_b32_e32 v45, 2, v44                              // 000000003460: 245A5882
	v_and_b32_e32 v44, 15, v0                                  // 000000003464: 2658008F
	v_lshrrev_b32_e32 v46, 2, v44                              // 000000003468: 205C5882
	v_lshlrev_b32_e32 v46, 6, v46                              // 00000000346C: 245C5C86
	v_add_u32_e32 v45, v46, v45                                // 000000003470: 685A5B2E
	v_and_b32_e32 v44, 3, v0                                   // 000000003474: 26580083
	v_add_u32_e32 v45, v44, v45                                // 000000003478: 685A5B2C
	v_lshlrev_b32_e32 v10, 2, v45                              // 00000000347C: 24145A82
	v_add_u32_e32 v11, 0x400, v10                              // 000000003480: 681614FF 00000400
	s_mul_i32 s60, s7, 16                                      // 000000003488: 923C9007
	s_mul_i32 s60, s60, 4                                      // 00000000348C: 923C843C
	v_add_u32_e32 v10, s60, v10                                // 000000003490: 6814143C
	v_add_u32_e32 v11, s60, v11                                // 000000003494: 6816163C
	v_mov_b32_e32 v5, v10                                      // 000000003498: 7E0A030A
	s_mul_i32 s60, s2, 0x80                                    // 00000000349C: 923CFF02 00000080
	s_mul_i32 s60, s60, 4                                      // 0000000034A4: 923C843C
	s_mul_i32 s61, s5, s74                                     // 0000000034A8: 923D4A05
	s_add_u32 s61, s61, s60                                    // 0000000034AC: 803D3C3D
	s_mul_i32 s62, s5, s76                                     // 0000000034B0: 923E4C05
	s_add_u32 s62, s62, s60                                    // 0000000034B4: 803E3C3E
	s_add_u32 s32, s61, s32                                    // 0000000034B8: 8020203D
	s_addc_u32 s33, 0, s33                                     // 0000000034BC: 82212180
	s_add_u32 s36, s62, s36                                    // 0000000034C0: 8024243E
	s_addc_u32 s37, 0, s37                                     // 0000000034C4: 82252580
	s_mul_i32 s60, s5, s75                                     // 0000000034C8: 923C4B05
	s_add_u32 s16, s60, s16                                    // 0000000034CC: 8010103C
	s_addc_u32 s17, 0, s17                                     // 0000000034D0: 82111180
	s_mov_b32 s57, 0x100                                       // 0000000034D4: BEB900FF 00000100
	s_mov_b32 s58, 0x1000                                      // 0000000034DC: BEBA00FF 00001000
	s_mov_b32 s79, 0x400                                       // 0000000034E4: BECF00FF 00000400
	s_mov_b32 s59, 0x200                                       // 0000000034EC: BEBB00FF 00000200
	s_mov_b32 s90, s58                                         // 0000000034F4: BEDA003A
	s_mov_b32 s52, 0x7060302                                   // 0000000034F8: BEB400FF 07060302
	s_mov_b32 s53, 0x400                                       // 000000003500: BEB500FF 00000400
	s_mov_b32 s54, 0x40100                                     // 000000003508: BEB600FF 00040100
	s_mov_b32 s55, 0x4020100                                   // 000000003510: BEB700FF 04020100
	s_mov_b32 s6, 0x3fb8aa3b                                   // 000000003518: BE8600FF 3FB8AA3B
	s_mov_b32 s77, 0xbd92220c                                  // 000000003520: BECD00FF BD92220C
	s_mov_b32 m0, s50                                          // 000000003528: BEFC0032
	v_mov_b32_e32 v1, 0xbfcc4231                               // 00000000352C: 7E0202FF BFCC4231
	v_mov_b32_e32 v39, 0xffff0000                              // 000000003534: 7E4E02FF FFFF0000
	v_mov_b32_e32 v40, 0x7fff0000                              // 00000000353C: 7E5002FF 7FFF0000
	v_mov_b32_e32 v41, 0x7fff                                  // 000000003544: 7E5202FF 00007FFF
	s_waitcnt vmcnt(0) expcnt(0) lgkmcnt(0)                    // 00000000354C: BF8C0000
	v_and_b32_e32 v6, 0xffffff, v6                             // 000000003550: 260C0CFF 00FFFFFF
	v_and_b32_e32 v7, 0xffffff, v7                             // 000000003558: 260E0EFF 00FFFFFF
	v_lshlrev_b32_e32 v6, 2, v6                                // 000000003560: 240C0C82
	v_lshlrev_b32_e32 v7, 2, v7                                // 000000003564: 240E0E82
	buffer_load_dword v13, v6, s[28:31], 0 offen               // 000000003568: E0501000 80070D06
	buffer_load_dword v14, v7, s[28:31], 0 offen               // 000000003570: E0501000 80070E07
	buffer_load_dword v15, v10, s[32:35], 0 offen              // 000000003578: E0501000 80080F0A
	buffer_load_dword v16, v11, s[32:35], 0 offen              // 000000003580: E0501000 8008100B
	s_mul_i32 s60, 4, s65                                      // 000000003588: 923C4184
	s_add_u32 s32, s60, s32                                    // 00000000358C: 8020203C
	s_addc_u32 s33, 0, s33                                     // 000000003590: 82212180
	buffer_load_dword v42, v10, s[32:35], 0 offen              // 000000003594: E0501000 80082A0A
	buffer_load_dword v43, v11, s[32:35], 0 offen              // 00000000359C: E0501000 80082B0B
	buffer_load_dword v17, v8, s[40:43], 0 offen               // 0000000035A4: E0501000 800A1108
	buffer_load_dword v18, v9, s[40:43], 0 offen               // 0000000035AC: E0501000 800A1209
	buffer_load_dword v24, s[20:23], 0 offen lds               // 0000000035B4: E0511000 80050018
	s_add_u32 m0, 0x100, s50                                   // 0000000035BC: 807C32FF 00000100
	buffer_load_dword v25, s[20:23], 0 offen lds               // 0000000035C4: E0511000 80050019
	s_add_u32 m0, 0x200, s50                                   // 0000000035CC: 807C32FF 00000200
	buffer_load_dword v26, s[20:23], 0 offen lds               // 0000000035D4: E0511000 8005001A
	s_add_u32 m0, 0x300, s50                                   // 0000000035DC: 807C32FF 00000300
	buffer_load_dword v27, s[20:23], 0 offen lds               // 0000000035E4: E0511000 8005001B
	s_add_u32 m0, 0x400, s50                                   // 0000000035EC: 807C32FF 00000400
	buffer_load_dword v28, s[20:23], 0 offen lds               // 0000000035F4: E0511000 8005001C
	s_add_u32 m0, 0x500, s50                                   // 0000000035FC: 807C32FF 00000500
	buffer_load_dword v29, s[20:23], 0 offen lds               // 000000003604: E0511000 8005001D
	s_add_u32 m0, 0x600, s50                                   // 00000000360C: 807C32FF 00000600
	buffer_load_dword v30, s[20:23], 0 offen lds               // 000000003614: E0511000 8005001E
	s_add_u32 m0, 0x700, s50                                   // 00000000361C: 807C32FF 00000700
	buffer_load_dword v31, s[20:23], 0 offen lds               // 000000003624: E0511000 8005001F
	s_add_u32 m0, 0, s51                                       // 00000000362C: 807C3380
	s_add_u32 s20, s57, s20                                    // 000000003630: 80141439
	s_addc_u32 s21, 0, s21                                     // 000000003634: 82151580
	buffer_load_dwordx4 a[0:3], v32, s[24:27], 0 offen         // 000000003638: E05C1000 80860020
	buffer_load_dwordx4 a[4:7], v32, s[24:27], 0 offen offset:1024// 000000003640: E05C1400 80860420
	buffer_load_dwordx4 a[8:11], v32, s[24:27], 0 offen offset:2048// 000000003648: E05C1800 80860820
	buffer_load_dwordx4 a[12:15], v32, s[24:27], 0 offen offset:3072// 000000003650: E05C1C00 80860C20
	buffer_load_dwordx4 a[16:19], v33, s[24:27], 0 offen       // 000000003658: E05C1000 80861021
	buffer_load_dwordx4 a[20:23], v33, s[24:27], 0 offen offset:1024// 000000003660: E05C1400 80861421
	buffer_load_dwordx4 a[24:27], v33, s[24:27], 0 offen offset:2048// 000000003668: E05C1800 80861821
	buffer_load_dwordx4 a[28:31], v33, s[24:27], 0 offen offset:3072// 000000003670: E05C1C00 80861C21
	s_add_u32 s24, s58, s24                                    // 000000003678: 8018183A
	s_addc_u32 s25, 0, s25                                     // 00000000367C: 82191980
	v_mov_b32_e32 v128, 0                                      // 000000003680: 7F000280
	v_mov_b32_e32 v64, 0                                       // 000000003684: 7E800280
	v_mov_b32_e32 v129, 0                                      // 000000003688: 7F020280
	v_mov_b32_e32 v65, 0                                       // 00000000368C: 7E820280
	v_mov_b32_e32 v130, 0                                      // 000000003690: 7F040280
	v_mov_b32_e32 v66, 0                                       // 000000003694: 7E840280
	v_mov_b32_e32 v131, 0                                      // 000000003698: 7F060280
	v_mov_b32_e32 v67, 0                                       // 00000000369C: 7E860280
	v_mov_b32_e32 v132, 0                                      // 0000000036A0: 7F080280
	v_mov_b32_e32 v68, 0                                       // 0000000036A4: 7E880280
	v_mov_b32_e32 v133, 0                                      // 0000000036A8: 7F0A0280
	v_mov_b32_e32 v69, 0                                       // 0000000036AC: 7E8A0280
	v_mov_b32_e32 v134, 0                                      // 0000000036B0: 7F0C0280
	v_mov_b32_e32 v70, 0                                       // 0000000036B4: 7E8C0280
	v_mov_b32_e32 v135, 0                                      // 0000000036B8: 7F0E0280
	v_mov_b32_e32 v71, 0                                       // 0000000036BC: 7E8E0280
	v_mov_b32_e32 v136, 0                                      // 0000000036C0: 7F100280
	v_mov_b32_e32 v72, 0                                       // 0000000036C4: 7E900280
	v_mov_b32_e32 v137, 0                                      // 0000000036C8: 7F120280
	v_mov_b32_e32 v73, 0                                       // 0000000036CC: 7E920280
	v_mov_b32_e32 v138, 0                                      // 0000000036D0: 7F140280
	v_mov_b32_e32 v74, 0                                       // 0000000036D4: 7E940280
	v_mov_b32_e32 v139, 0                                      // 0000000036D8: 7F160280
	v_mov_b32_e32 v75, 0                                       // 0000000036DC: 7E960280
	v_mov_b32_e32 v140, 0                                      // 0000000036E0: 7F180280
	v_mov_b32_e32 v76, 0                                       // 0000000036E4: 7E980280
	v_mov_b32_e32 v141, 0                                      // 0000000036E8: 7F1A0280
	v_mov_b32_e32 v77, 0                                       // 0000000036EC: 7E9A0280
	v_mov_b32_e32 v142, 0                                      // 0000000036F0: 7F1C0280
	v_mov_b32_e32 v78, 0                                       // 0000000036F4: 7E9C0280
	v_mov_b32_e32 v143, 0                                      // 0000000036F8: 7F1E0280
	v_mov_b32_e32 v79, 0                                       // 0000000036FC: 7E9E0280
	v_lshrrev_b32_e32 v44, 4, v0                               // 000000003700: 20580084
	v_mul_i32_i24_e32 v3, 34, v44                              // 000000003704: 0C0658A2
	v_and_b32_e32 v44, 15, v0                                  // 000000003708: 2658008F
	v_mul_i32_i24_e32 v45, 2, v44                              // 00000000370C: 0C5A5882
	v_add_u32_e32 v3, v45, v3                                  // 000000003710: 6806072D
	s_mul_i32 s60, s7, 0x88                                    // 000000003714: 923CFF07 00000088
	v_add_u32_e32 v3, s60, v3                                  // 00000000371C: 6806063C
	v_lshlrev_b32_e32 v3, 2, v3                                // 000000003720: 24060682
	v_lshrrev_b32_e32 v44, 1, v0                               // 000000003724: 20580081
	v_mul_i32_i24_e32 v4, 34, v44                              // 000000003728: 0C0858A2
	v_and_b32_e32 v45, 1, v0                                   // 00000000372C: 265A0081
	v_add_u32_e32 v4, v45, v4                                  // 000000003730: 6808092D
	s_mul_i32 s60, s7, 2                                       // 000000003734: 923C8207
	v_add_u32_e32 v4, s60, v4                                  // 000000003738: 6808083C
	v_lshlrev_b32_e32 v4, 2, v4                                // 00000000373C: 24080882
	s_waitcnt vmcnt(8)                                         // 000000003740: BF8C0F78
	s_barrier                                                  // 000000003744: BF8A0000
	ds_read_b128 v[144:147], v2                                // 000000003748: D9FE0000 90000002
	ds_read_b128 v[148:151], v2 offset:64                      // 000000003750: D9FE0040 94000002
	ds_read_b128 v[152:155], v2 offset:128                     // 000000003758: D9FE0080 98000002
	ds_read_b128 v[156:159], v2 offset:192                     // 000000003760: D9FE00C0 9C000002
	ds_read_b128 v[160:163], v2 offset:1024                    // 000000003768: D9FE0400 A0000002
	ds_read_b128 v[164:167], v2 offset:1088                    // 000000003770: D9FE0440 A4000002
	ds_read_b128 v[168:171], v2 offset:1152                    // 000000003778: D9FE0480 A8000002
	ds_read_b128 v[172:175], v2 offset:1216                    // 000000003780: D9FE04C0 AC000002
	s_cmp_lt_i32 s7, 2                                         // 000000003788: BF048207
	s_cbranch_scc0 label_08E7                                  // 00000000378C: BF840683

0000000000003790 <label_0264>:
	s_waitcnt vmcnt(0) lgkmcnt(0)                              // 000000003790: BF8C0070
	s_barrier                                                  // 000000003794: BF8A0000
	v_mfma_f32_16x16x32_fp8_fp8 v[128:131], a[0:1], v[144:145], v[128:131]// 000000003798: D3F30080 0E032100
	v_mfma_f32_16x16x32_fp8_fp8 v[128:131], a[2:3], v[146:147], v[128:131]// 0000000037A0: D3F30080 0E032502
	buffer_load_dwordx4 a[32:35], v32, s[92:95], 0 offen       // 0000000037A8: E05C1000 80972020
	v_mfma_f32_16x16x32_fp8_fp8 v[128:131], a[4:5], v[148:149], v[128:131]// 0000000037B0: D3F30080 0E032904
	v_mfma_f32_16x16x32_fp8_fp8 v[128:131], a[6:7], v[150:151], v[128:131]// 0000000037B8: D3F30080 0E032D06
	buffer_load_dword v24, s[20:23], 0 offen lds               // 0000000037C0: E0511000 80050018
	s_add_u32 m0, 0x100, s51                                   // 0000000037C8: 807C33FF 00000100
	v_mfma_f32_16x16x32_fp8_fp8 v[128:131], a[8:9], v[152:153], v[128:131]// 0000000037D0: D3F30080 0E033108
	v_mfma_f32_16x16x32_fp8_fp8 v[128:131], a[10:11], v[154:155], v[128:131]// 0000000037D8: D3F30080 0E03350A
	buffer_load_dwordx4 a[36:39], v32, s[92:95], 0 offen offset:1024// 0000000037E0: E05C1400 80972420
	v_mfma_f32_16x16x32_fp8_fp8 v[128:131], a[12:13], v[156:157], v[128:131]// 0000000037E8: D3F30080 0E03390C
	v_mfma_f32_16x16x32_fp8_fp8 v[128:131], a[14:15], v[158:159], v[128:131]// 0000000037F0: D3F30080 0E033D0E
	buffer_load_dword v25, s[20:23], 0 offen lds               // 0000000037F8: E0511000 80050019
	s_add_u32 m0, 0x200, s51                                   // 000000003800: 807C33FF 00000200
	v_mfma_f32_16x16x32_fp8_fp8 v[132:135], a[0:1], v[160:161], v[132:135]// 000000003808: D3F30084 0E134100
	v_mfma_f32_16x16x32_fp8_fp8 v[132:135], a[2:3], v[162:163], v[132:135]// 000000003810: D3F30084 0E134502
	buffer_load_dwordx4 a[40:43], v32, s[92:95], 0 offen offset:2048// 000000003818: E05C1800 80972820
	v_mfma_f32_16x16x32_fp8_fp8 v[132:135], a[4:5], v[164:165], v[132:135]// 000000003820: D3F30084 0E134904
	v_mfma_f32_16x16x32_fp8_fp8 v[132:135], a[6:7], v[166:167], v[132:135]// 000000003828: D3F30084 0E134D06
	buffer_load_dword v26, s[20:23], 0 offen lds               // 000000003830: E0511000 8005001A
	s_add_u32 m0, 0x300, s51                                   // 000000003838: 807C33FF 00000300
	v_mfma_f32_16x16x32_fp8_fp8 v[132:135], a[8:9], v[168:169], v[132:135]// 000000003840: D3F30084 0E135108
	v_mfma_f32_16x16x32_fp8_fp8 v[132:135], a[10:11], v[170:171], v[132:135]// 000000003848: D3F30084 0E13550A
	buffer_load_dwordx4 a[44:47], v32, s[92:95], 0 offen offset:3072// 000000003850: E05C1C00 80972C20
	v_mfma_f32_16x16x32_fp8_fp8 v[132:135], a[12:13], v[172:173], v[132:135]// 000000003858: D3F30084 0E13590C
	v_mfma_f32_16x16x32_fp8_fp8 v[132:135], a[14:15], v[174:175], v[132:135]// 000000003860: D3F30084 0E135D0E
	buffer_load_dword v27, s[20:23], 0 offen lds               // 000000003868: E0511000 8005001B
	s_add_u32 m0, 0x400, s51                                   // 000000003870: 807C33FF 00000400
	v_mfma_f32_16x16x32_fp8_fp8 v[136:139], a[16:17], v[144:145], v[136:139]// 000000003878: D3F30088 0E232110
	v_mfma_f32_16x16x32_fp8_fp8 v[136:139], a[18:19], v[146:147], v[136:139]// 000000003880: D3F30088 0E232512
	buffer_load_dwordx4 a[48:51], v33, s[92:95], 0 offen       // 000000003888: E05C1000 80973021
	v_mfma_f32_16x16x32_fp8_fp8 v[136:139], a[20:21], v[148:149], v[136:139]// 000000003890: D3F30088 0E232914
	v_mfma_f32_16x16x32_fp8_fp8 v[136:139], a[22:23], v[150:151], v[136:139]// 000000003898: D3F30088 0E232D16
	buffer_load_dword v28, s[20:23], 0 offen lds               // 0000000038A0: E0511000 8005001C
	s_add_u32 m0, 0x500, s51                                   // 0000000038A8: 807C33FF 00000500
	v_mfma_f32_16x16x32_fp8_fp8 v[136:139], a[24:25], v[152:153], v[136:139]// 0000000038B0: D3F30088 0E233118
	v_mfma_f32_16x16x32_fp8_fp8 v[136:139], a[26:27], v[154:155], v[136:139]// 0000000038B8: D3F30088 0E23351A
	buffer_load_dwordx4 a[52:55], v33, s[92:95], 0 offen offset:1024// 0000000038C0: E05C1400 80973421
	v_mfma_f32_16x16x32_fp8_fp8 v[136:139], a[28:29], v[156:157], v[136:139]// 0000000038C8: D3F30088 0E23391C
	v_mfma_f32_16x16x32_fp8_fp8 v[136:139], a[30:31], v[158:159], v[136:139]// 0000000038D0: D3F30088 0E233D1E
	buffer_load_dword v29, s[20:23], 0 offen lds               // 0000000038D8: E0511000 8005001D
	s_add_u32 m0, 0x600, s51                                   // 0000000038E0: 807C33FF 00000600
	v_mfma_f32_16x16x32_fp8_fp8 v[140:143], a[16:17], v[160:161], v[140:143]// 0000000038E8: D3F3008C 0E334110
	v_mfma_f32_16x16x32_fp8_fp8 v[140:143], a[18:19], v[162:163], v[140:143]// 0000000038F0: D3F3008C 0E334512
	buffer_load_dwordx4 a[56:59], v33, s[92:95], 0 offen offset:2048// 0000000038F8: E05C1800 80973821
	v_mfma_f32_16x16x32_fp8_fp8 v[140:143], a[20:21], v[164:165], v[140:143]// 000000003900: D3F3008C 0E334914
	v_mfma_f32_16x16x32_fp8_fp8 v[140:143], a[22:23], v[166:167], v[140:143]// 000000003908: D3F3008C 0E334D16
	buffer_load_dword v30, s[20:23], 0 offen lds               // 000000003910: E0511000 8005001E
	s_add_u32 m0, 0x700, s51                                   // 000000003918: 807C33FF 00000700
	v_mfma_f32_16x16x32_fp8_fp8 v[140:143], a[24:25], v[168:169], v[140:143]// 000000003920: D3F3008C 0E335118
	v_mfma_f32_16x16x32_fp8_fp8 v[140:143], a[26:27], v[170:171], v[140:143]// 000000003928: D3F3008C 0E33551A
	buffer_load_dwordx4 a[60:63], v33, s[92:95], 0 offen offset:3072// 000000003930: E05C1C00 80973C21
	v_mfma_f32_16x16x32_fp8_fp8 v[140:143], a[28:29], v[172:173], v[140:143]// 000000003938: D3F3008C 0E33591C
	v_mfma_f32_16x16x32_fp8_fp8 v[140:143], a[30:31], v[174:175], v[140:143]// 000000003940: D3F3008C 0E335D1E
	buffer_load_dword v31, s[20:23], 0 offen lds               // 000000003948: E0511000 8005001F
	s_add_u32 m0, 0, s50                                       // 000000003950: 807C3280
	s_waitcnt vmcnt(0)                                         // 000000003954: BF8C0F70
	s_barrier                                                  // 000000003958: BF8A0000
	v_mfma_f32_16x16x32_fp8_fp8 v[64:67], a[32:33], v[144:145], v[64:67]// 00000000395C: D3F30040 0D032120
	v_mfma_f32_16x16x32_fp8_fp8 v[64:67], a[34:35], v[146:147], v[64:67]// 000000003964: D3F30040 0D032522
	buffer_load_dwordx4 a[0:3], v32, s[24:27], 0 offen         // 00000000396C: E05C1000 80860020
	v_mfma_f32_16x16x32_fp8_fp8 v[64:67], a[36:37], v[148:149], v[64:67]// 000000003974: D3F30040 0D032924
	v_mfma_f32_16x16x32_fp8_fp8 v[64:67], a[38:39], v[150:151], v[64:67]// 00000000397C: D3F30040 0D032D26
	ds_read_b128 v[176:179], v2 offset:8320                    // 000000003984: D9FE2080 B0000002
	v_mfma_f32_16x16x32_fp8_fp8 v[64:67], a[40:41], v[152:153], v[64:67]// 00000000398C: D3F30040 0D033128
	v_mfma_f32_16x16x32_fp8_fp8 v[64:67], a[42:43], v[154:155], v[64:67]// 000000003994: D3F30040 0D03352A
	buffer_load_dwordx4 a[4:7], v32, s[24:27], 0 offen offset:1024// 00000000399C: E05C1400 80860420
	v_mfma_f32_16x16x32_fp8_fp8 v[64:67], a[44:45], v[156:157], v[64:67]// 0000000039A4: D3F30040 0D03392C
	v_mfma_f32_16x16x32_fp8_fp8 v[64:67], a[46:47], v[158:159], v[64:67]// 0000000039AC: D3F30040 0D033D2E
	ds_read_b128 v[180:183], v2 offset:8384                    // 0000000039B4: D9FE20C0 B4000002
	v_mfma_f32_16x16x32_fp8_fp8 v[68:71], a[32:33], v[160:161], v[68:71]// 0000000039BC: D3F30044 0D134120
	v_mfma_f32_16x16x32_fp8_fp8 v[68:71], a[34:35], v[162:163], v[68:71]// 0000000039C4: D3F30044 0D134522
	buffer_load_dwordx4 a[8:11], v32, s[24:27], 0 offen offset:2048// 0000000039CC: E05C1800 80860820
	v_mfma_f32_16x16x32_fp8_fp8 v[68:71], a[36:37], v[164:165], v[68:71]// 0000000039D4: D3F30044 0D134924
	v_mfma_f32_16x16x32_fp8_fp8 v[68:71], a[38:39], v[166:167], v[68:71]// 0000000039DC: D3F30044 0D134D26
	ds_read_b128 v[184:187], v2 offset:8448                    // 0000000039E4: D9FE2100 B8000002
	v_mfma_f32_16x16x32_fp8_fp8 v[68:71], a[40:41], v[168:169], v[68:71]// 0000000039EC: D3F30044 0D135128
	v_mfma_f32_16x16x32_fp8_fp8 v[68:71], a[42:43], v[170:171], v[68:71]// 0000000039F4: D3F30044 0D13552A
	buffer_load_dwordx4 a[12:15], v32, s[24:27], 0 offen offset:3072// 0000000039FC: E05C1C00 80860C20
	v_mfma_f32_16x16x32_fp8_fp8 v[68:71], a[44:45], v[172:173], v[68:71]// 000000003A04: D3F30044 0D13592C
	v_mfma_f32_16x16x32_fp8_fp8 v[68:71], a[46:47], v[174:175], v[68:71]// 000000003A0C: D3F30044 0D135D2E
	ds_read_b128 v[188:191], v2 offset:8512                    // 000000003A14: D9FE2140 BC000002
	v_mfma_f32_16x16x32_fp8_fp8 v[72:75], a[48:49], v[144:145], v[72:75]// 000000003A1C: D3F30048 0D232130
	v_mfma_f32_16x16x32_fp8_fp8 v[72:75], a[50:51], v[146:147], v[72:75]// 000000003A24: D3F30048 0D232532
	buffer_load_dwordx4 a[16:19], v33, s[24:27], 0 offen       // 000000003A2C: E05C1000 80861021
	v_mfma_f32_16x16x32_fp8_fp8 v[72:75], a[52:53], v[148:149], v[72:75]// 000000003A34: D3F30048 0D232934
	v_mfma_f32_16x16x32_fp8_fp8 v[72:75], a[54:55], v[150:151], v[72:75]// 000000003A3C: D3F30048 0D232D36
	ds_read_b128 v[192:195], v2 offset:9344                    // 000000003A44: D9FE2480 C0000002
	v_mfma_f32_16x16x32_fp8_fp8 v[72:75], a[56:57], v[152:153], v[72:75]// 000000003A4C: D3F30048 0D233138
	v_mfma_f32_16x16x32_fp8_fp8 v[72:75], a[58:59], v[154:155], v[72:75]// 000000003A54: D3F30048 0D23353A
	buffer_load_dwordx4 a[20:23], v33, s[24:27], 0 offen offset:1024// 000000003A5C: E05C1400 80861421
	v_mfma_f32_16x16x32_fp8_fp8 v[72:75], a[60:61], v[156:157], v[72:75]// 000000003A64: D3F30048 0D23393C
	v_mfma_f32_16x16x32_fp8_fp8 v[72:75], a[62:63], v[158:159], v[72:75]// 000000003A6C: D3F30048 0D233D3E
	ds_read_b128 v[196:199], v2 offset:9408                    // 000000003A74: D9FE24C0 C4000002
	v_mfma_f32_16x16x32_fp8_fp8 v[76:79], a[48:49], v[160:161], v[76:79]// 000000003A7C: D3F3004C 0D334130
	v_mfma_f32_16x16x32_fp8_fp8 v[76:79], a[50:51], v[162:163], v[76:79]// 000000003A84: D3F3004C 0D334532
	buffer_load_dwordx4 a[24:27], v33, s[24:27], 0 offen offset:2048// 000000003A8C: E05C1800 80861821
	v_mfma_f32_16x16x32_fp8_fp8 v[76:79], a[52:53], v[164:165], v[76:79]// 000000003A94: D3F3004C 0D334934
	v_mfma_f32_16x16x32_fp8_fp8 v[76:79], a[54:55], v[166:167], v[76:79]// 000000003A9C: D3F3004C 0D334D36
	ds_read_b128 v[200:203], v2 offset:9472                    // 000000003AA4: D9FE2500 C8000002
	v_mfma_f32_16x16x32_fp8_fp8 v[76:79], a[56:57], v[168:169], v[76:79]// 000000003AAC: D3F3004C 0D335138
	v_mfma_f32_16x16x32_fp8_fp8 v[76:79], a[58:59], v[170:171], v[76:79]// 000000003AB4: D3F3004C 0D33553A
	buffer_load_dwordx4 a[28:31], v33, s[24:27], 0 offen offset:3072// 000000003ABC: E05C1C00 80861C21
	v_mfma_f32_16x16x32_fp8_fp8 v[76:79], a[60:61], v[172:173], v[76:79]// 000000003AC4: D3F3004C 0D33593C
	v_mfma_f32_16x16x32_fp8_fp8 v[76:79], a[62:63], v[174:175], v[76:79]// 000000003ACC: D3F3004C 0D335D3E
	ds_read_b128 v[204:207], v2 offset:9536                    // 000000003AD4: D9FE2540 CC000002
	s_add_u32 s60, 0x200, s80                                  // 000000003ADC: 803C50FF 00000200
	s_cmp_lt_u32 s60, s81                                      // 000000003AE4: BF0A513C
	s_cselect_b32 s57, s57, 0                                  // 000000003AE8: 85398039
	s_add_u32 s60, 0x200, s80                                  // 000000003AEC: 803C50FF 00000200
	s_cmp_lt_u32 s60, s81                                      // 000000003AF4: BF0A513C
	s_cselect_b32 s58, s58, 0                                  // 000000003AF8: 853A803A
	s_add_u32 s20, s57, s20                                    // 000000003AFC: 80141439
	s_addc_u32 s21, 0, s21                                     // 000000003B00: 82151580
	s_add_u32 s24, s58, s24                                    // 000000003B04: 8018183A
	s_addc_u32 s25, 0, s25                                     // 000000003B08: 82191980
	s_add_u32 s92, s90, s92                                    // 000000003B0C: 805C5C5A
	s_addc_u32 s93, 0, s93                                     // 000000003B10: 825D5D80
	s_addk_i32 s80, 0x100                                      // 000000003B14: B7500100
	s_cmp_lt_i32 s80, s81                                      // 000000003B18: BF045150
	s_cbranch_scc0 label_042D                                  // 000000003B1C: BF8400E5
	s_waitcnt vmcnt(0) lgkmcnt(0)                              // 000000003B20: BF8C0070
	s_barrier                                                  // 000000003B24: BF8A0000
	v_mfma_f32_16x16x32_fp8_fp8 v[128:131], a[0:1], v[176:177], v[128:131]// 000000003B28: D3F30080 0E036100
	v_mfma_f32_16x16x32_fp8_fp8 v[128:131], a[2:3], v[178:179], v[128:131]// 000000003B30: D3F30080 0E036502
	buffer_load_dwordx4 a[32:35], v32, s[92:95], 0 offen       // 000000003B38: E05C1000 80972020
	v_mfma_f32_16x16x32_fp8_fp8 v[128:131], a[4:5], v[180:181], v[128:131]// 000000003B40: D3F30080 0E036904
	v_mfma_f32_16x16x32_fp8_fp8 v[128:131], a[6:7], v[182:183], v[128:131]// 000000003B48: D3F30080 0E036D06
	buffer_load_dword v24, s[20:23], 0 offen lds               // 000000003B50: E0511000 80050018
	s_add_u32 m0, 0x100, s50                                   // 000000003B58: 807C32FF 00000100
	v_mfma_f32_16x16x32_fp8_fp8 v[128:131], a[8:9], v[184:185], v[128:131]// 000000003B60: D3F30080 0E037108
	v_mfma_f32_16x16x32_fp8_fp8 v[128:131], a[10:11], v[186:187], v[128:131]// 000000003B68: D3F30080 0E03750A
	buffer_load_dwordx4 a[36:39], v32, s[92:95], 0 offen offset:1024// 000000003B70: E05C1400 80972420
	v_mfma_f32_16x16x32_fp8_fp8 v[128:131], a[12:13], v[188:189], v[128:131]// 000000003B78: D3F30080 0E03790C
	v_mfma_f32_16x16x32_fp8_fp8 v[128:131], a[14:15], v[190:191], v[128:131]// 000000003B80: D3F30080 0E037D0E
	buffer_load_dword v25, s[20:23], 0 offen lds               // 000000003B88: E0511000 80050019
	s_add_u32 m0, 0x200, s50                                   // 000000003B90: 807C32FF 00000200
	v_mfma_f32_16x16x32_fp8_fp8 v[132:135], a[0:1], v[192:193], v[132:135]// 000000003B98: D3F30084 0E138100
	v_mfma_f32_16x16x32_fp8_fp8 v[132:135], a[2:3], v[194:195], v[132:135]// 000000003BA0: D3F30084 0E138502
	buffer_load_dwordx4 a[40:43], v32, s[92:95], 0 offen offset:2048// 000000003BA8: E05C1800 80972820
	v_mfma_f32_16x16x32_fp8_fp8 v[132:135], a[4:5], v[196:197], v[132:135]// 000000003BB0: D3F30084 0E138904
	v_mfma_f32_16x16x32_fp8_fp8 v[132:135], a[6:7], v[198:199], v[132:135]// 000000003BB8: D3F30084 0E138D06
	buffer_load_dword v26, s[20:23], 0 offen lds               // 000000003BC0: E0511000 8005001A
	s_add_u32 m0, 0x300, s50                                   // 000000003BC8: 807C32FF 00000300
	v_mfma_f32_16x16x32_fp8_fp8 v[132:135], a[8:9], v[200:201], v[132:135]// 000000003BD0: D3F30084 0E139108
	v_mfma_f32_16x16x32_fp8_fp8 v[132:135], a[10:11], v[202:203], v[132:135]// 000000003BD8: D3F30084 0E13950A
	buffer_load_dwordx4 a[44:47], v32, s[92:95], 0 offen offset:3072// 000000003BE0: E05C1C00 80972C20
	v_mfma_f32_16x16x32_fp8_fp8 v[132:135], a[12:13], v[204:205], v[132:135]// 000000003BE8: D3F30084 0E13990C
	v_mfma_f32_16x16x32_fp8_fp8 v[132:135], a[14:15], v[206:207], v[132:135]// 000000003BF0: D3F30084 0E139D0E
	buffer_load_dword v27, s[20:23], 0 offen lds               // 000000003BF8: E0511000 8005001B
	s_add_u32 m0, 0x400, s50                                   // 000000003C00: 807C32FF 00000400
	v_mfma_f32_16x16x32_fp8_fp8 v[136:139], a[16:17], v[176:177], v[136:139]// 000000003C08: D3F30088 0E236110
	v_mfma_f32_16x16x32_fp8_fp8 v[136:139], a[18:19], v[178:179], v[136:139]// 000000003C10: D3F30088 0E236512
	buffer_load_dwordx4 a[48:51], v33, s[92:95], 0 offen       // 000000003C18: E05C1000 80973021
	v_mfma_f32_16x16x32_fp8_fp8 v[136:139], a[20:21], v[180:181], v[136:139]// 000000003C20: D3F30088 0E236914
	v_mfma_f32_16x16x32_fp8_fp8 v[136:139], a[22:23], v[182:183], v[136:139]// 000000003C28: D3F30088 0E236D16
	buffer_load_dword v28, s[20:23], 0 offen lds               // 000000003C30: E0511000 8005001C
	s_add_u32 m0, 0x500, s50                                   // 000000003C38: 807C32FF 00000500
	v_mfma_f32_16x16x32_fp8_fp8 v[136:139], a[24:25], v[184:185], v[136:139]// 000000003C40: D3F30088 0E237118
	v_mfma_f32_16x16x32_fp8_fp8 v[136:139], a[26:27], v[186:187], v[136:139]// 000000003C48: D3F30088 0E23751A
	buffer_load_dwordx4 a[52:55], v33, s[92:95], 0 offen offset:1024// 000000003C50: E05C1400 80973421
	v_mfma_f32_16x16x32_fp8_fp8 v[136:139], a[28:29], v[188:189], v[136:139]// 000000003C58: D3F30088 0E23791C
	v_mfma_f32_16x16x32_fp8_fp8 v[136:139], a[30:31], v[190:191], v[136:139]// 000000003C60: D3F30088 0E237D1E
	buffer_load_dword v29, s[20:23], 0 offen lds               // 000000003C68: E0511000 8005001D
	s_add_u32 m0, 0x600, s50                                   // 000000003C70: 807C32FF 00000600
	v_mfma_f32_16x16x32_fp8_fp8 v[140:143], a[16:17], v[192:193], v[140:143]// 000000003C78: D3F3008C 0E338110
	v_mfma_f32_16x16x32_fp8_fp8 v[140:143], a[18:19], v[194:195], v[140:143]// 000000003C80: D3F3008C 0E338512
	buffer_load_dwordx4 a[56:59], v33, s[92:95], 0 offen offset:2048// 000000003C88: E05C1800 80973821
	v_mfma_f32_16x16x32_fp8_fp8 v[140:143], a[20:21], v[196:197], v[140:143]// 000000003C90: D3F3008C 0E338914
	v_mfma_f32_16x16x32_fp8_fp8 v[140:143], a[22:23], v[198:199], v[140:143]// 000000003C98: D3F3008C 0E338D16
	buffer_load_dword v30, s[20:23], 0 offen lds               // 000000003CA0: E0511000 8005001E
	s_add_u32 m0, 0x700, s50                                   // 000000003CA8: 807C32FF 00000700
	v_mfma_f32_16x16x32_fp8_fp8 v[140:143], a[24:25], v[200:201], v[140:143]// 000000003CB0: D3F3008C 0E339118
	v_mfma_f32_16x16x32_fp8_fp8 v[140:143], a[26:27], v[202:203], v[140:143]// 000000003CB8: D3F3008C 0E33951A
	buffer_load_dwordx4 a[60:63], v33, s[92:95], 0 offen offset:3072// 000000003CC0: E05C1C00 80973C21
	v_mfma_f32_16x16x32_fp8_fp8 v[140:143], a[28:29], v[204:205], v[140:143]// 000000003CC8: D3F3008C 0E33991C
	v_mfma_f32_16x16x32_fp8_fp8 v[140:143], a[30:31], v[206:207], v[140:143]// 000000003CD0: D3F3008C 0E339D1E
	buffer_load_dword v31, s[20:23], 0 offen lds               // 000000003CD8: E0511000 8005001F
	s_add_u32 m0, 0, s51                                       // 000000003CE0: 807C3380
	s_waitcnt vmcnt(0)                                         // 000000003CE4: BF8C0F70
	s_barrier                                                  // 000000003CE8: BF8A0000
	v_mfma_f32_16x16x32_fp8_fp8 v[64:67], a[32:33], v[176:177], v[64:67]// 000000003CEC: D3F30040 0D036120
	v_mfma_f32_16x16x32_fp8_fp8 v[64:67], a[34:35], v[178:179], v[64:67]// 000000003CF4: D3F30040 0D036522
	buffer_load_dwordx4 a[0:3], v32, s[24:27], 0 offen         // 000000003CFC: E05C1000 80860020
	v_mfma_f32_16x16x32_fp8_fp8 v[64:67], a[36:37], v[180:181], v[64:67]// 000000003D04: D3F30040 0D036924
	v_mfma_f32_16x16x32_fp8_fp8 v[64:67], a[38:39], v[182:183], v[64:67]// 000000003D0C: D3F30040 0D036D26
	ds_read_b128 v[144:147], v2                                // 000000003D14: D9FE0000 90000002
	v_mfma_f32_16x16x32_fp8_fp8 v[64:67], a[40:41], v[184:185], v[64:67]// 000000003D1C: D3F30040 0D037128
	v_mfma_f32_16x16x32_fp8_fp8 v[64:67], a[42:43], v[186:187], v[64:67]// 000000003D24: D3F30040 0D03752A
	buffer_load_dwordx4 a[4:7], v32, s[24:27], 0 offen offset:1024// 000000003D2C: E05C1400 80860420
	v_mfma_f32_16x16x32_fp8_fp8 v[64:67], a[44:45], v[188:189], v[64:67]// 000000003D34: D3F30040 0D03792C
	v_mfma_f32_16x16x32_fp8_fp8 v[64:67], a[46:47], v[190:191], v[64:67]// 000000003D3C: D3F30040 0D037D2E
	ds_read_b128 v[148:151], v2 offset:64                      // 000000003D44: D9FE0040 94000002
	v_mfma_f32_16x16x32_fp8_fp8 v[68:71], a[32:33], v[192:193], v[68:71]// 000000003D4C: D3F30044 0D138120
	v_mfma_f32_16x16x32_fp8_fp8 v[68:71], a[34:35], v[194:195], v[68:71]// 000000003D54: D3F30044 0D138522
	buffer_load_dwordx4 a[8:11], v32, s[24:27], 0 offen offset:2048// 000000003D5C: E05C1800 80860820
	v_mfma_f32_16x16x32_fp8_fp8 v[68:71], a[36:37], v[196:197], v[68:71]// 000000003D64: D3F30044 0D138924
	v_mfma_f32_16x16x32_fp8_fp8 v[68:71], a[38:39], v[198:199], v[68:71]// 000000003D6C: D3F30044 0D138D26
	ds_read_b128 v[152:155], v2 offset:128                     // 000000003D74: D9FE0080 98000002
	v_mfma_f32_16x16x32_fp8_fp8 v[68:71], a[40:41], v[200:201], v[68:71]// 000000003D7C: D3F30044 0D139128
	v_mfma_f32_16x16x32_fp8_fp8 v[68:71], a[42:43], v[202:203], v[68:71]// 000000003D84: D3F30044 0D13952A
	buffer_load_dwordx4 a[12:15], v32, s[24:27], 0 offen offset:3072// 000000003D8C: E05C1C00 80860C20
	v_mfma_f32_16x16x32_fp8_fp8 v[68:71], a[44:45], v[204:205], v[68:71]// 000000003D94: D3F30044 0D13992C
	v_mfma_f32_16x16x32_fp8_fp8 v[68:71], a[46:47], v[206:207], v[68:71]// 000000003D9C: D3F30044 0D139D2E
	ds_read_b128 v[156:159], v2 offset:192                     // 000000003DA4: D9FE00C0 9C000002
	v_mfma_f32_16x16x32_fp8_fp8 v[72:75], a[48:49], v[176:177], v[72:75]// 000000003DAC: D3F30048 0D236130
	v_mfma_f32_16x16x32_fp8_fp8 v[72:75], a[50:51], v[178:179], v[72:75]// 000000003DB4: D3F30048 0D236532
	buffer_load_dwordx4 a[16:19], v33, s[24:27], 0 offen       // 000000003DBC: E05C1000 80861021
	v_mfma_f32_16x16x32_fp8_fp8 v[72:75], a[52:53], v[180:181], v[72:75]// 000000003DC4: D3F30048 0D236934
	v_mfma_f32_16x16x32_fp8_fp8 v[72:75], a[54:55], v[182:183], v[72:75]// 000000003DCC: D3F30048 0D236D36
	ds_read_b128 v[160:163], v2 offset:1024                    // 000000003DD4: D9FE0400 A0000002
	v_mfma_f32_16x16x32_fp8_fp8 v[72:75], a[56:57], v[184:185], v[72:75]// 000000003DDC: D3F30048 0D237138
	v_mfma_f32_16x16x32_fp8_fp8 v[72:75], a[58:59], v[186:187], v[72:75]// 000000003DE4: D3F30048 0D23753A
	buffer_load_dwordx4 a[20:23], v33, s[24:27], 0 offen offset:1024// 000000003DEC: E05C1400 80861421
	v_mfma_f32_16x16x32_fp8_fp8 v[72:75], a[60:61], v[188:189], v[72:75]// 000000003DF4: D3F30048 0D23793C
	v_mfma_f32_16x16x32_fp8_fp8 v[72:75], a[62:63], v[190:191], v[72:75]// 000000003DFC: D3F30048 0D237D3E
	ds_read_b128 v[164:167], v2 offset:1088                    // 000000003E04: D9FE0440 A4000002
	v_mfma_f32_16x16x32_fp8_fp8 v[76:79], a[48:49], v[192:193], v[76:79]// 000000003E0C: D3F3004C 0D338130
	v_mfma_f32_16x16x32_fp8_fp8 v[76:79], a[50:51], v[194:195], v[76:79]// 000000003E14: D3F3004C 0D338532
	buffer_load_dwordx4 a[24:27], v33, s[24:27], 0 offen offset:2048// 000000003E1C: E05C1800 80861821
	v_mfma_f32_16x16x32_fp8_fp8 v[76:79], a[52:53], v[196:197], v[76:79]// 000000003E24: D3F3004C 0D338934
	v_mfma_f32_16x16x32_fp8_fp8 v[76:79], a[54:55], v[198:199], v[76:79]// 000000003E2C: D3F3004C 0D338D36
	ds_read_b128 v[168:171], v2 offset:1152                    // 000000003E34: D9FE0480 A8000002
	v_mfma_f32_16x16x32_fp8_fp8 v[76:79], a[56:57], v[200:201], v[76:79]// 000000003E3C: D3F3004C 0D339138
	v_mfma_f32_16x16x32_fp8_fp8 v[76:79], a[58:59], v[202:203], v[76:79]// 000000003E44: D3F3004C 0D33953A
	buffer_load_dwordx4 a[28:31], v33, s[24:27], 0 offen offset:3072// 000000003E4C: E05C1C00 80861C21
	v_mfma_f32_16x16x32_fp8_fp8 v[76:79], a[60:61], v[204:205], v[76:79]// 000000003E54: D3F3004C 0D33993C
	v_mfma_f32_16x16x32_fp8_fp8 v[76:79], a[62:63], v[206:207], v[76:79]// 000000003E5C: D3F3004C 0D339D3E
	ds_read_b128 v[172:175], v2 offset:1216                    // 000000003E64: D9FE04C0 AC000002
	s_add_u32 s60, 0x200, s80                                  // 000000003E6C: 803C50FF 00000200
	s_cmp_lt_u32 s60, s81                                      // 000000003E74: BF0A513C
	s_cselect_b32 s57, s57, 0                                  // 000000003E78: 85398039
	s_add_u32 s60, 0x200, s80                                  // 000000003E7C: 803C50FF 00000200
	s_cmp_lt_u32 s60, s81                                      // 000000003E84: BF0A513C
	s_cselect_b32 s58, s58, 0                                  // 000000003E88: 853A803A
	s_add_u32 s20, s57, s20                                    // 000000003E8C: 80141439
	s_addc_u32 s21, 0, s21                                     // 000000003E90: 82151580
	s_add_u32 s24, s58, s24                                    // 000000003E94: 8018183A
	s_addc_u32 s25, 0, s25                                     // 000000003E98: 82191980
	s_add_u32 s92, s90, s92                                    // 000000003E9C: 805C5C5A
	s_addc_u32 s93, 0, s93                                     // 000000003EA0: 825D5D80
	s_addk_i32 s80, 0x100                                      // 000000003EA4: B7500100
	s_cmp_lt_i32 s80, s81                                      // 000000003EA8: BF045150
	s_cbranch_scc0 label_042D                                  // 000000003EAC: BF840001
	s_branch label_0264                                        // 000000003EB0: BF82FE37

0000000000003eb4 <label_042D>:
	s_mov_b32 s36, -1                                          // 000000003EB4: BEA400C1
	s_mov_b32 s37, -1                                          // 000000003EB8: BEA500C1
	s_mov_b64 s[60:61], 0                                      // 000000003EBC: BEBC0180
	s_cmp_lt_u32 s82, s66                                      // 000000003EC0: BF0A4252
	s_cselect_b64 s[20:21], s[36:37], s[60:61]                 // 000000003EC4: 85943C24
	s_cmp_lt_u32 s83, s66                                      // 000000003EC8: BF0A4253
	s_cselect_b64 s[22:23], s[36:37], s[60:61]                 // 000000003ECC: 85963C24
	s_cmp_lt_u32 s84, s66                                      // 000000003ED0: BF0A4254
	s_cselect_b64 s[24:25], s[36:37], s[60:61]                 // 000000003ED4: 85983C24
	s_cmp_lt_u32 s85, s66                                      // 000000003ED8: BF0A4255
	s_cselect_b64 s[26:27], s[36:37], s[60:61]                 // 000000003EDC: 859A3C24
	s_cmp_lt_u32 s86, s66                                      // 000000003EE0: BF0A4256
	s_cselect_b64 s[28:29], s[36:37], s[60:61]                 // 000000003EE4: 859C3C24
	s_cmp_lt_u32 s87, s66                                      // 000000003EE8: BF0A4257
	s_cselect_b64 s[30:31], s[36:37], s[60:61]                 // 000000003EEC: 859E3C24
	s_cmp_lt_u32 s88, s66                                      // 000000003EF0: BF0A4258
	s_cselect_b64 s[32:33], s[36:37], s[60:61]                 // 000000003EF4: 85A03C24
	s_cmp_lt_u32 s89, s66                                      // 000000003EF8: BF0A4259
	s_cselect_b64 s[34:35], s[36:37], s[60:61]                 // 000000003EFC: 85A23C24
	v_mul_f32_e32 v128, v13, v128                              // 000000003F00: 0B01010D
	v_mul_f32_e32 v128, v17, v128                              // 000000003F04: 0B010111
	v_mul_f32_e32 v129, v13, v129                              // 000000003F08: 0B03030D
	v_mul_f32_e32 v129, v17, v129                              // 000000003F0C: 0B030311
	v_mul_f32_e32 v130, v13, v130                              // 000000003F10: 0B05050D
	v_mul_f32_e32 v130, v17, v130                              // 000000003F14: 0B050511
	v_mul_f32_e32 v131, v13, v131                              // 000000003F18: 0B07070D
	v_mul_f32_e32 v131, v17, v131                              // 000000003F1C: 0B070711
	v_mul_f32_dpp v128, v15, v128 row_newbcast:0 row_mask:0xf bank_mask:0xf// 000000003F20: 0B0100FA FF01500F
	v_mul_f32_dpp v129, v15, v129 row_newbcast:1 row_mask:0xf bank_mask:0xf// 000000003F28: 0B0302FA FF01510F
	v_mul_f32_dpp v130, v15, v130 row_newbcast:2 row_mask:0xf bank_mask:0xf// 000000003F30: 0B0504FA FF01520F
	v_mul_f32_dpp v131, v15, v131 row_newbcast:3 row_mask:0xf bank_mask:0xf// 000000003F38: 0B0706FA FF01530F
	v_mul_f32_e32 v132, v14, v132                              // 000000003F40: 0B09090E
	v_mul_f32_e32 v132, v18, v132                              // 000000003F44: 0B090912
	v_mul_f32_e32 v133, v14, v133                              // 000000003F48: 0B0B0B0E
	v_mul_f32_e32 v133, v18, v133                              // 000000003F4C: 0B0B0B12
	v_mul_f32_e32 v134, v14, v134                              // 000000003F50: 0B0D0D0E
	v_mul_f32_e32 v134, v18, v134                              // 000000003F54: 0B0D0D12
	v_mul_f32_e32 v135, v14, v135                              // 000000003F58: 0B0F0F0E
	v_mul_f32_e32 v135, v18, v135                              // 000000003F5C: 0B0F0F12
	v_mul_f32_dpp v132, v15, v132 row_newbcast:0 row_mask:0xf bank_mask:0xf// 000000003F60: 0B0908FA FF01500F
	v_mul_f32_dpp v133, v15, v133 row_newbcast:1 row_mask:0xf bank_mask:0xf// 000000003F68: 0B0B0AFA FF01510F
	v_mul_f32_dpp v134, v15, v134 row_newbcast:2 row_mask:0xf bank_mask:0xf// 000000003F70: 0B0D0CFA FF01520F
	v_mul_f32_dpp v135, v15, v135 row_newbcast:3 row_mask:0xf bank_mask:0xf// 000000003F78: 0B0F0EFA FF01530F
	v_mul_f32_e32 v136, v13, v136                              // 000000003F80: 0B11110D
	v_mul_f32_e32 v136, v17, v136                              // 000000003F84: 0B111111
	v_mul_f32_e32 v137, v13, v137                              // 000000003F88: 0B13130D
	v_mul_f32_e32 v137, v17, v137                              // 000000003F8C: 0B131311
	v_mul_f32_e32 v138, v13, v138                              // 000000003F90: 0B15150D
	v_mul_f32_e32 v138, v17, v138                              // 000000003F94: 0B151511
	v_mul_f32_e32 v139, v13, v139                              // 000000003F98: 0B17170D
	v_mul_f32_e32 v139, v17, v139                              // 000000003F9C: 0B171711
	v_mul_f32_dpp v136, v15, v136 row_newbcast:4 row_mask:0xf bank_mask:0xf// 000000003FA0: 0B1110FA FF01540F
	v_mul_f32_dpp v137, v15, v137 row_newbcast:5 row_mask:0xf bank_mask:0xf// 000000003FA8: 0B1312FA FF01550F
	v_mul_f32_dpp v138, v15, v138 row_newbcast:6 row_mask:0xf bank_mask:0xf// 000000003FB0: 0B1514FA FF01560F
	v_mul_f32_dpp v139, v15, v139 row_newbcast:7 row_mask:0xf bank_mask:0xf// 000000003FB8: 0B1716FA FF01570F
	v_mul_f32_e32 v140, v14, v140                              // 000000003FC0: 0B19190E
	v_mul_f32_e32 v140, v18, v140                              // 000000003FC4: 0B191912
	v_mul_f32_e32 v141, v14, v141                              // 000000003FC8: 0B1B1B0E
	v_mul_f32_e32 v141, v18, v141                              // 000000003FCC: 0B1B1B12
	v_mul_f32_e32 v142, v14, v142                              // 000000003FD0: 0B1D1D0E
	v_mul_f32_e32 v142, v18, v142                              // 000000003FD4: 0B1D1D12
	v_mul_f32_e32 v143, v14, v143                              // 000000003FD8: 0B1F1F0E
	v_mul_f32_e32 v143, v18, v143                              // 000000003FDC: 0B1F1F12
	v_mul_f32_dpp v140, v15, v140 row_newbcast:4 row_mask:0xf bank_mask:0xf// 000000003FE0: 0B1918FA FF01540F
	v_mul_f32_dpp v141, v15, v141 row_newbcast:5 row_mask:0xf bank_mask:0xf// 000000003FE8: 0B1B1AFA FF01550F
	v_mul_f32_dpp v142, v15, v142 row_newbcast:6 row_mask:0xf bank_mask:0xf// 000000003FF0: 0B1D1CFA FF01560F
	v_mul_f32_dpp v143, v15, v143 row_newbcast:7 row_mask:0xf bank_mask:0xf// 000000003FF8: 0B1F1EFA FF01570F
	v_mul_f32_e32 v64, v13, v64                                // 000000004000: 0A80810D
	v_mul_f32_e32 v64, v17, v64                                // 000000004004: 0A808111
	v_mul_f32_e32 v65, v13, v65                                // 000000004008: 0A82830D
	v_mul_f32_e32 v65, v17, v65                                // 00000000400C: 0A828311
	v_mul_f32_e32 v66, v13, v66                                // 000000004010: 0A84850D
	v_mul_f32_e32 v66, v17, v66                                // 000000004014: 0A848511
	v_mul_f32_e32 v67, v13, v67                                // 000000004018: 0A86870D
	v_mul_f32_e32 v67, v17, v67                                // 00000000401C: 0A868711
	v_mul_f32_dpp v64, v42, v64 row_newbcast:0 row_mask:0xf bank_mask:0xf// 000000004020: 0A8080FA FF01502A
	v_mul_f32_dpp v65, v42, v65 row_newbcast:1 row_mask:0xf bank_mask:0xf// 000000004028: 0A8282FA FF01512A
	v_mul_f32_dpp v66, v42, v66 row_newbcast:2 row_mask:0xf bank_mask:0xf// 000000004030: 0A8484FA FF01522A
	v_mul_f32_dpp v67, v42, v67 row_newbcast:3 row_mask:0xf bank_mask:0xf// 000000004038: 0A8686FA FF01532A
	v_mul_f32_e32 v68, v14, v68                                // 000000004040: 0A88890E
	v_mul_f32_e32 v68, v18, v68                                // 000000004044: 0A888912
	v_mul_f32_e32 v69, v14, v69                                // 000000004048: 0A8A8B0E
	v_mul_f32_e32 v69, v18, v69                                // 00000000404C: 0A8A8B12
	v_mul_f32_e32 v70, v14, v70                                // 000000004050: 0A8C8D0E
	v_mul_f32_e32 v70, v18, v70                                // 000000004054: 0A8C8D12
	v_mul_f32_e32 v71, v14, v71                                // 000000004058: 0A8E8F0E
	v_mul_f32_e32 v71, v18, v71                                // 00000000405C: 0A8E8F12
	v_mul_f32_dpp v68, v42, v68 row_newbcast:0 row_mask:0xf bank_mask:0xf// 000000004060: 0A8888FA FF01502A
	v_mul_f32_dpp v69, v42, v69 row_newbcast:1 row_mask:0xf bank_mask:0xf// 000000004068: 0A8A8AFA FF01512A
	v_mul_f32_dpp v70, v42, v70 row_newbcast:2 row_mask:0xf bank_mask:0xf// 000000004070: 0A8C8CFA FF01522A
	v_mul_f32_dpp v71, v42, v71 row_newbcast:3 row_mask:0xf bank_mask:0xf// 000000004078: 0A8E8EFA FF01532A
	v_mul_f32_e32 v72, v13, v72                                // 000000004080: 0A90910D
	v_mul_f32_e32 v72, v17, v72                                // 000000004084: 0A909111
	v_mul_f32_e32 v73, v13, v73                                // 000000004088: 0A92930D
	v_mul_f32_e32 v73, v17, v73                                // 00000000408C: 0A929311
	v_mul_f32_e32 v74, v13, v74                                // 000000004090: 0A94950D
	v_mul_f32_e32 v74, v17, v74                                // 000000004094: 0A949511
	v_mul_f32_e32 v75, v13, v75                                // 000000004098: 0A96970D
	v_mul_f32_e32 v75, v17, v75                                // 00000000409C: 0A969711
	v_mul_f32_dpp v72, v42, v72 row_newbcast:4 row_mask:0xf bank_mask:0xf// 0000000040A0: 0A9090FA FF01542A
	v_mul_f32_dpp v73, v42, v73 row_newbcast:5 row_mask:0xf bank_mask:0xf// 0000000040A8: 0A9292FA FF01552A
	v_mul_f32_dpp v74, v42, v74 row_newbcast:6 row_mask:0xf bank_mask:0xf// 0000000040B0: 0A9494FA FF01562A
	v_mul_f32_dpp v75, v42, v75 row_newbcast:7 row_mask:0xf bank_mask:0xf// 0000000040B8: 0A9696FA FF01572A
	v_mul_f32_e32 v76, v14, v76                                // 0000000040C0: 0A98990E
	v_mul_f32_e32 v76, v18, v76                                // 0000000040C4: 0A989912
	v_mul_f32_e32 v77, v14, v77                                // 0000000040C8: 0A9A9B0E
	v_mul_f32_e32 v77, v18, v77                                // 0000000040CC: 0A9A9B12
	v_mul_f32_e32 v78, v14, v78                                // 0000000040D0: 0A9C9D0E
	v_mul_f32_e32 v78, v18, v78                                // 0000000040D4: 0A9C9D12
	v_mul_f32_e32 v79, v14, v79                                // 0000000040D8: 0A9E9F0E
	v_mul_f32_e32 v79, v18, v79                                // 0000000040DC: 0A9E9F12
	v_mul_f32_dpp v76, v42, v76 row_newbcast:4 row_mask:0xf bank_mask:0xf// 0000000040E0: 0A9898FA FF01542A
	v_mul_f32_dpp v77, v42, v77 row_newbcast:5 row_mask:0xf bank_mask:0xf// 0000000040E8: 0A9A9AFA FF01552A
	v_mul_f32_dpp v78, v42, v78 row_newbcast:6 row_mask:0xf bank_mask:0xf// 0000000040F0: 0A9C9CFA FF01562A
	v_mul_f32_dpp v79, v42, v79 row_newbcast:7 row_mask:0xf bank_mask:0xf// 0000000040F8: 0A9E9EFA FF01572A
	s_waitcnt vmcnt(4)                                         // 000000004100: BF8C0F74
	buffer_load_dwordx4 a[0:3], v34, s[12:15], 0 offen         // 000000004104: E05C1000 80830022
	v_mul_f32_e64 v44, -v128, s6                               // 00000000410C: D105002C 20000D80
	v_mul_f32_e64 v45, -v129, s6                               // 000000004114: D105002D 20000D81
	v_mul_f32_e64 v46, -v130, s6                               // 00000000411C: D105002E 20000D82
	v_mul_f32_e64 v47, -v131, s6                               // 000000004124: D105002F 20000D83
	v_exp_f32_e32 v44, v44                                     // 00000000412C: 7E58412C
	v_exp_f32_e32 v45, v45                                     // 000000004130: 7E5A412D
	v_exp_f32_e32 v46, v46                                     // 000000004134: 7E5C412E
	v_exp_f32_e32 v47, v47                                     // 000000004138: 7E5E412F
	buffer_load_dwordx4 a[4:7], v35, s[12:15], 0 offen         // 00000000413C: E05C1000 80830423
	v_add_f32_e64 v44, v44, 1.0                                // 000000004144: D101002C 0001E52C
	v_add_f32_e64 v45, v45, 1.0                                // 00000000414C: D101002D 0001E52D
	v_add_f32_e64 v46, v46, 1.0                                // 000000004154: D101002E 0001E52E
	v_add_f32_e64 v47, v47, 1.0                                // 00000000415C: D101002F 0001E52F
	v_rcp_f32_e32 v44, v44                                     // 000000004164: 7E58452C
	v_rcp_f32_e32 v45, v45                                     // 000000004168: 7E5A452D
	v_rcp_f32_e32 v46, v46                                     // 00000000416C: 7E5C452E
	v_rcp_f32_e32 v47, v47                                     // 000000004170: 7E5E452F
	v_mul_f32_e32 v128, v128, v44                              // 000000004174: 0B005980
	v_mul_f32_e32 v129, v129, v45                              // 000000004178: 0B025B81
	v_mul_f32_e32 v130, v130, v46                              // 00000000417C: 0B045D82
	v_mul_f32_e32 v131, v131, v47                              // 000000004180: 0B065F83
	v_mul_f32_e32 v128, v128, v64                              // 000000004184: 0B008180
	v_mul_f32_e32 v129, v129, v65                              // 000000004188: 0B028381
	v_mul_f32_e32 v130, v130, v66                              // 00000000418C: 0B048582
	v_mul_f32_e32 v131, v131, v67                              // 000000004190: 0B068783
	buffer_load_dwordx4 a[8:11], v36, s[12:15], 0 offen        // 000000004194: E05C1000 80830824
	v_mul_f32_e64 v44, -v132, s6                               // 00000000419C: D105002C 20000D84
	v_mul_f32_e64 v45, -v133, s6                               // 0000000041A4: D105002D 20000D85
	v_mul_f32_e64 v46, -v134, s6                               // 0000000041AC: D105002E 20000D86
	v_mul_f32_e64 v47, -v135, s6                               // 0000000041B4: D105002F 20000D87
	v_exp_f32_e32 v44, v44                                     // 0000000041BC: 7E58412C
	v_exp_f32_e32 v45, v45                                     // 0000000041C0: 7E5A412D
	v_exp_f32_e32 v46, v46                                     // 0000000041C4: 7E5C412E
	v_exp_f32_e32 v47, v47                                     // 0000000041C8: 7E5E412F
	buffer_load_dwordx4 a[12:15], v37, s[12:15], 0 offen       // 0000000041CC: E05C1000 80830C25
	s_add_u32 s12, s78, s12                                    // 0000000041D4: 800C0C4E
	s_addc_u32 s13, 0, s13                                     // 0000000041D8: 820D0D80
	v_add_f32_e64 v44, v44, 1.0                                // 0000000041DC: D101002C 0001E52C
	v_add_f32_e64 v45, v45, 1.0                                // 0000000041E4: D101002D 0001E52D
	v_add_f32_e64 v46, v46, 1.0                                // 0000000041EC: D101002E 0001E52E
	v_add_f32_e64 v47, v47, 1.0                                // 0000000041F4: D101002F 0001E52F
	v_rcp_f32_e32 v44, v44                                     // 0000000041FC: 7E58452C
	v_rcp_f32_e32 v45, v45                                     // 000000004200: 7E5A452D
	v_rcp_f32_e32 v46, v46                                     // 000000004204: 7E5C452E
	v_rcp_f32_e32 v47, v47                                     // 000000004208: 7E5E452F
	v_mul_f32_e32 v132, v132, v44                              // 00000000420C: 0B085984
	v_mul_f32_e32 v133, v133, v45                              // 000000004210: 0B0A5B85
	v_mul_f32_e32 v134, v134, v46                              // 000000004214: 0B0C5D86
	v_mul_f32_e32 v135, v135, v47                              // 000000004218: 0B0E5F87
	v_mul_f32_e32 v132, v132, v68                              // 00000000421C: 0B088984
	v_mul_f32_e32 v133, v133, v69                              // 000000004220: 0B0A8B85
	v_mul_f32_e32 v134, v134, v70                              // 000000004224: 0B0C8D86
	v_mul_f32_e32 v135, v135, v71                              // 000000004228: 0B0E8F87
	s_waitcnt vmcnt(4)                                         // 00000000422C: BF8C0F74
	buffer_load_dwordx4 a[16:19], v34, s[12:15], 0 offen       // 000000004230: E05C1000 80831022
	v_mul_f32_e64 v44, -v136, s6                               // 000000004238: D105002C 20000D88
	v_mul_f32_e64 v45, -v137, s6                               // 000000004240: D105002D 20000D89
	v_mul_f32_e64 v46, -v138, s6                               // 000000004248: D105002E 20000D8A
	v_mul_f32_e64 v47, -v139, s6                               // 000000004250: D105002F 20000D8B
	v_exp_f32_e32 v44, v44                                     // 000000004258: 7E58412C
	v_exp_f32_e32 v45, v45                                     // 00000000425C: 7E5A412D
	v_exp_f32_e32 v46, v46                                     // 000000004260: 7E5C412E
	v_exp_f32_e32 v47, v47                                     // 000000004264: 7E5E412F
	buffer_load_dwordx4 a[20:23], v35, s[12:15], 0 offen       // 000000004268: E05C1000 80831423
	v_add_f32_e64 v44, v44, 1.0                                // 000000004270: D101002C 0001E52C
	v_add_f32_e64 v45, v45, 1.0                                // 000000004278: D101002D 0001E52D
	v_add_f32_e64 v46, v46, 1.0                                // 000000004280: D101002E 0001E52E
	v_add_f32_e64 v47, v47, 1.0                                // 000000004288: D101002F 0001E52F
	v_rcp_f32_e32 v44, v44                                     // 000000004290: 7E58452C
	v_rcp_f32_e32 v45, v45                                     // 000000004294: 7E5A452D
	v_rcp_f32_e32 v46, v46                                     // 000000004298: 7E5C452E
	v_rcp_f32_e32 v47, v47                                     // 00000000429C: 7E5E452F
	v_mul_f32_e32 v136, v136, v44                              // 0000000042A0: 0B105988
	v_mul_f32_e32 v137, v137, v45                              // 0000000042A4: 0B125B89
	v_mul_f32_e32 v138, v138, v46                              // 0000000042A8: 0B145D8A
	v_mul_f32_e32 v139, v139, v47                              // 0000000042AC: 0B165F8B
	v_mul_f32_e32 v136, v136, v72                              // 0000000042B0: 0B109188
	v_mul_f32_e32 v137, v137, v73                              // 0000000042B4: 0B129389
	v_mul_f32_e32 v138, v138, v74                              // 0000000042B8: 0B14958A
	v_mul_f32_e32 v139, v139, v75                              // 0000000042BC: 0B16978B
	buffer_load_dwordx4 a[24:27], v36, s[12:15], 0 offen       // 0000000042C0: E05C1000 80831824
	v_mul_f32_e64 v44, -v140, s6                               // 0000000042C8: D105002C 20000D8C
	v_mul_f32_e64 v45, -v141, s6                               // 0000000042D0: D105002D 20000D8D
	v_mul_f32_e64 v46, -v142, s6                               // 0000000042D8: D105002E 20000D8E
	v_mul_f32_e64 v47, -v143, s6                               // 0000000042E0: D105002F 20000D8F
	v_exp_f32_e32 v44, v44                                     // 0000000042E8: 7E58412C
	v_exp_f32_e32 v45, v45                                     // 0000000042EC: 7E5A412D
	v_exp_f32_e32 v46, v46                                     // 0000000042F0: 7E5C412E
	v_exp_f32_e32 v47, v47                                     // 0000000042F4: 7E5E412F
	buffer_load_dwordx4 a[28:31], v37, s[12:15], 0 offen       // 0000000042F8: E05C1000 80831C25
	v_add_f32_e64 v44, v44, 1.0                                // 000000004300: D101002C 0001E52C
	v_add_f32_e64 v45, v45, 1.0                                // 000000004308: D101002D 0001E52D
	v_add_f32_e64 v46, v46, 1.0                                // 000000004310: D101002E 0001E52E
	v_add_f32_e64 v47, v47, 1.0                                // 000000004318: D101002F 0001E52F
	v_rcp_f32_e32 v44, v44                                     // 000000004320: 7E58452C
	v_rcp_f32_e32 v45, v45                                     // 000000004324: 7E5A452D
	v_rcp_f32_e32 v46, v46                                     // 000000004328: 7E5C452E
	v_rcp_f32_e32 v47, v47                                     // 00000000432C: 7E5E452F
	v_mul_f32_e32 v140, v140, v44                              // 000000004330: 0B18598C
	v_mul_f32_e32 v141, v141, v45                              // 000000004334: 0B1A5B8D
	v_mul_f32_e32 v142, v142, v46                              // 000000004338: 0B1C5D8E
	v_mul_f32_e32 v143, v143, v47                              // 00000000433C: 0B1E5F8F
	v_mul_f32_e32 v140, v140, v76                              // 000000004340: 0B18998C
	v_mul_f32_e32 v141, v141, v77                              // 000000004344: 0B1A9B8D
	v_mul_f32_e32 v142, v142, v78                              // 000000004348: 0B1C9D8E
	v_mul_f32_e32 v143, v143, v79                              // 00000000434C: 0B1E9F8F
	v_lshlrev_b32_e32 v44, 2, v0                               // 000000004350: 24580082
	s_mul_i32 s60, s82, s71                                    // 000000004354: 923C4752
	v_add_u32_e64 v80, v44, s60                                // 000000004358: D1340050 0000792C
	v_mov_b32_e32 v81, 0                                       // 000000004360: 7EA20280
	s_mul_i32 s60, s83, s71                                    // 000000004364: 923C4753
	v_add_u32_e64 v82, v44, s60                                // 000000004368: D1340052 0000792C
	v_mov_b32_e32 v83, 0                                       // 000000004370: 7EA60280
	s_mul_i32 s60, s84, s71                                    // 000000004374: 923C4754
	v_add_u32_e64 v84, v44, s60                                // 000000004378: D1340054 0000792C
	v_mov_b32_e32 v85, 0                                       // 000000004380: 7EAA0280
	s_mul_i32 s60, s85, s71                                    // 000000004384: 923C4755
	v_add_u32_e64 v86, v44, s60                                // 000000004388: D1340056 0000792C
	v_mov_b32_e32 v87, 0                                       // 000000004390: 7EAE0280
	s_mul_i32 s60, s86, s71                                    // 000000004394: 923C4756
	v_add_u32_e64 v88, v44, s60                                // 000000004398: D1340058 0000792C
	v_mov_b32_e32 v89, 0                                       // 0000000043A0: 7EB20280
	s_mul_i32 s60, s87, s71                                    // 0000000043A4: 923C4757
	v_add_u32_e64 v90, v44, s60                                // 0000000043A8: D134005A 0000792C
	v_mov_b32_e32 v91, 0                                       // 0000000043B0: 7EB60280
	s_mul_i32 s60, s88, s71                                    // 0000000043B4: 923C4758
	v_add_u32_e64 v92, v44, s60                                // 0000000043B8: D134005C 0000792C
	v_mov_b32_e32 v93, 0                                       // 0000000043C0: 7EBA0280
	s_mul_i32 s60, s89, s71                                    // 0000000043C4: 923C4759
	v_add_u32_e64 v94, v44, s60                                // 0000000043C8: D134005E 0000792C
	v_mov_b32_e32 v95, 0                                       // 0000000043D0: 7EBE0280
	buffer_load_dword v11, v5, s[16:19], 0 offen               // 0000000043D4: E0501000 80040B05
	v_mov_b32_e32 v20, 0x358637bd                              // 0000000043DC: 7E2802FF 358637BD
	v_mov_b32_e32 v21, 0x358637bd                              // 0000000043E4: 7E2A02FF 358637BD
	v_max3_f32 v20, |v128|, |v129|, v20                        // 0000000043EC: D1D30314 04530380
	v_max3_f32 v20, |v130|, |v131|, v20                        // 0000000043F4: D1D30314 04530782
	v_max3_f32 v21, |v132|, |v133|, v21                        // 0000000043FC: D1D30315 04570B84
	v_max3_f32 v21, |v134|, |v135|, v21                        // 000000004404: D1D30315 04570F86
	v_max3_f32 v20, |v136|, |v137|, v20                        // 00000000440C: D1D30314 04531388
	v_max3_f32 v20, |v138|, |v139|, v20                        // 000000004414: D1D30314 0453178A
	v_max3_f32 v21, |v140|, |v141|, v21                        // 00000000441C: D1D30315 04571B8C
	v_max3_f32 v21, |v142|, |v143|, v21                        // 000000004424: D1D30315 04571F8E
	v_lshlrev_b32_e32 v44, 3, v0                               // 00000000442C: 24580083
	s_mul_i32 s60, 0x200, s7                                   // 000000004430: 923C07FF 00000200
	v_add_u32_e32 v44, s60, v44                                // 000000004438: 6858583C
	ds_write_b64 v44, v[20:21] offset:16640                    // 00000000443C: D89A4100 0000142C
	s_waitcnt lgkmcnt(0)                                       // 000000004444: BF8CC07F
	s_barrier                                                  // 000000004448: BF8A0000
	v_and_b32_e32 v44, 15, v0                                  // 00000000444C: 2658008F
	v_lshlrev_b32_e32 v44, 3, v44                              // 000000004450: 24585883
	ds_read_b64 v[96:97], v44 offset:16640                     // 000000004454: D8EC4100 6000002C
	ds_read_b64 v[98:99], v44 offset:16768                     // 00000000445C: D8EC4180 6200002C
	ds_read_b64 v[100:101], v44 offset:16896                   // 000000004464: D8EC4200 6400002C
	ds_read_b64 v[102:103], v44 offset:17024                   // 00000000446C: D8EC4280 6600002C
	ds_read_b64 v[104:105], v44 offset:17152                   // 000000004474: D8EC4300 6800002C
	ds_read_b64 v[106:107], v44 offset:17280                   // 00000000447C: D8EC4380 6A00002C
	ds_read_b64 v[108:109], v44 offset:17408                   // 000000004484: D8EC4400 6C00002C
	ds_read_b64 v[110:111], v44 offset:17536                   // 00000000448C: D8EC4480 6E00002C
	ds_read_b64 v[112:113], v44 offset:17664                   // 000000004494: D8EC4500 7000002C
	ds_read_b64 v[114:115], v44 offset:17792                   // 00000000449C: D8EC4580 7200002C
	ds_read_b64 v[116:117], v44 offset:17920                   // 0000000044A4: D8EC4600 7400002C
	ds_read_b64 v[118:119], v44 offset:18048                   // 0000000044AC: D8EC4680 7600002C
	ds_read_b64 v[120:121], v44 offset:18176                   // 0000000044B4: D8EC4700 7800002C
	ds_read_b64 v[122:123], v44 offset:18304                   // 0000000044BC: D8EC4780 7A00002C
	ds_read_b64 v[124:125], v44 offset:18432                   // 0000000044C4: D8EC4800 7C00002C
	ds_read_b64 v[126:127], v44 offset:18560                   // 0000000044CC: D8EC4880 7E00002C
	s_waitcnt lgkmcnt(0)                                       // 0000000044D4: BF8CC07F
	v_max3_f32 v20, |v96|, |v98|, v20                          // 0000000044D8: D1D30314 0452C560
	v_max3_f32 v21, |v97|, |v99|, v21                          // 0000000044E0: D1D30315 0456C761
	v_max3_f32 v20, |v100|, |v102|, v20                        // 0000000044E8: D1D30314 0452CD64
	v_max3_f32 v21, |v101|, |v103|, v21                        // 0000000044F0: D1D30315 0456CF65
	v_max3_f32 v20, |v104|, |v106|, v20                        // 0000000044F8: D1D30314 0452D568
	v_max3_f32 v21, |v105|, |v107|, v21                        // 000000004500: D1D30315 0456D769
	v_max3_f32 v20, |v108|, |v110|, v20                        // 000000004508: D1D30314 0452DD6C
	v_max3_f32 v21, |v109|, |v111|, v21                        // 000000004510: D1D30315 0456DF6D
	v_max3_f32 v20, |v112|, |v114|, v20                        // 000000004518: D1D30314 0452E570
	v_max3_f32 v21, |v113|, |v115|, v21                        // 000000004520: D1D30315 0456E771
	v_max3_f32 v20, |v116|, |v118|, v20                        // 000000004528: D1D30314 0452ED74
	v_max3_f32 v21, |v117|, |v119|, v21                        // 000000004530: D1D30315 0456EF75
	v_max3_f32 v20, |v120|, |v122|, v20                        // 000000004538: D1D30314 0452F578
	v_max3_f32 v21, |v121|, |v123|, v21                        // 000000004540: D1D30315 0456F779
	v_max3_f32 v20, |v124|, |v126|, v20                        // 000000004548: D1D30314 0452FD7C
	v_max3_f32 v21, |v125|, |v127|, v21                        // 000000004550: D1D30315 0456FF7D
	v_rcp_f32_e32 v20, v20                                     // 000000004558: 7E284514
	v_rcp_f32_e32 v21, v21                                     // 00000000455C: 7E2A4515
	v_mov_b32_e32 v44, 0x43e00000                              // 000000004560: 7E5802FF 43E00000
	v_mul_f32_e32 v20, v44, v20                                // 000000004568: 0A28292C
	v_mul_f32_e32 v21, v44, v21                                // 00000000456C: 0A2A2B2C
	v_mul_f32_e32 v128, v20, v128                              // 000000004570: 0B010114
	v_mul_f32_e32 v129, v20, v129                              // 000000004574: 0B030314
	v_mul_f32_e32 v130, v20, v130                              // 000000004578: 0B050514
	v_mul_f32_e32 v131, v20, v131                              // 00000000457C: 0B070714
	v_cvt_pk_fp8_f32 v128, v128, v129                          // 000000004580: D2A20080 00030380
	v_cvt_pk_fp8_f32 v128, v130, v131 op_sel:[0,0,1]           // 000000004588: D2A24080 00030782
	v_mul_f32_e32 v132, v21, v132                              // 000000004590: 0B090915
	v_mul_f32_e32 v133, v21, v133                              // 000000004594: 0B0B0B15
	v_mul_f32_e32 v134, v21, v134                              // 000000004598: 0B0D0D15
	v_mul_f32_e32 v135, v21, v135                              // 00000000459C: 0B0F0F15
	v_cvt_pk_fp8_f32 v129, v132, v133                          // 0000000045A0: D2A20081 00030B84
	v_cvt_pk_fp8_f32 v129, v134, v135 op_sel:[0,0,1]           // 0000000045A8: D2A24081 00030F86
	v_mul_f32_e32 v136, v20, v136                              // 0000000045B0: 0B111114
	v_mul_f32_e32 v137, v20, v137                              // 0000000045B4: 0B131314
	v_mul_f32_e32 v138, v20, v138                              // 0000000045B8: 0B151514
	v_mul_f32_e32 v139, v20, v139                              // 0000000045BC: 0B171714
	v_cvt_pk_fp8_f32 v130, v136, v137                          // 0000000045C0: D2A20082 00031388
	v_cvt_pk_fp8_f32 v130, v138, v139 op_sel:[0,0,1]           // 0000000045C8: D2A24082 0003178A
	v_mul_f32_e32 v140, v21, v140                              // 0000000045D0: 0B191915
	v_mul_f32_e32 v141, v21, v141                              // 0000000045D4: 0B1B1B15
	v_mul_f32_e32 v142, v21, v142                              // 0000000045D8: 0B1D1D15
	v_mul_f32_e32 v143, v21, v143                              // 0000000045DC: 0B1F1F15
	v_cvt_pk_fp8_f32 v131, v140, v141                          // 0000000045E0: D2A20083 00031B8C
	v_cvt_pk_fp8_f32 v131, v142, v143 op_sel:[0,0,1]           // 0000000045E8: D2A24083 00031F8E
	v_rcp_f32_e32 v22, v20                                     // 0000000045F0: 7E2C4514
	v_rcp_f32_e32 v23, v21                                     // 0000000045F4: 7E2E4515
	v_lshrrev_b32_e32 v44, 5, v0                               // 0000000045F8: 20580085
	v_lshlrev_b32_e32 v45, 5, v44                              // 0000000045FC: 245A5885
	v_and_b32_e32 v44, 31, v0                                  // 000000004600: 2658009F
	v_lshrrev_b32_e32 v46, 4, v44                              // 000000004604: 205C5884
	v_add_u32_e32 v45, v46, v45                                // 000000004608: 685A5B2E
	v_and_b32_e32 v44, 15, v0                                  // 00000000460C: 2658008F
	v_lshlrev_b32_e32 v44, 1, v44                              // 000000004610: 24585881
	v_add_u32_e32 v45, v44, v45                                // 000000004614: 685A5B2C
	v_lshlrev_b32_e32 v44, 2, v45                              // 000000004618: 24585A82
	s_mul_i32 s60, 0x100, s7                                   // 00000000461C: 923C07FF 00000100
	v_add_u32_e64 v44, v44, s60                                // 000000004624: D134002C 0000792C
	ds_write_b32 v44, v128 offset:18688                        // 00000000462C: D81A4900 0000802C
	ds_write_b32 v44, v129 offset:20736                        // 000000004634: D81A5100 0000812C
	ds_write_b32 v44, v130 offset:19712                        // 00000000463C: D81A4D00 0000822C
	ds_write_b32 v44, v131 offset:21760                        // 000000004644: D81A5500 0000832C
	s_waitcnt lgkmcnt(0)                                       // 00000000464C: BF8CC07F
	s_barrier                                                  // 000000004650: BF8A0000
	v_lshrrev_b32_e32 v44, 4, v0                               // 000000004654: 20580084
	v_lshlrev_b32_e32 v45, 6, v44                              // 000000004658: 245A5886
	v_and_b32_e32 v44, 15, v0                                  // 00000000465C: 2658008F
	v_lshlrev_b32_e32 v44, 1, v44                              // 000000004660: 24585881
	v_add_u32_e32 v45, v44, v45                                // 000000004664: 685A5B2C
	v_lshlrev_b32_e32 v44, 2, v45                              // 000000004668: 24585A82
	ds_read_b64 v[128:129], v44 offset:18688                   // 00000000466C: D8EC4900 8000002C
	ds_read_b64 v[130:131], v44 offset:18816                   // 000000004674: D8EC4980 8200002C
	ds_read_b64 v[132:133], v44 offset:19712                   // 00000000467C: D8EC4D00 8400002C
	ds_read_b64 v[134:135], v44 offset:19840                   // 000000004684: D8EC4D80 8600002C
	ds_read_b64 v[136:137], v44 offset:20736                   // 00000000468C: D8EC5100 8800002C
	ds_read_b64 v[138:139], v44 offset:20864                   // 000000004694: D8EC5180 8A00002C
	ds_read_b64 v[140:141], v44 offset:21760                   // 00000000469C: D8EC5500 8C00002C
	ds_read_b64 v[142:143], v44 offset:21888                   // 0000000046A4: D8EC5580 8E00002C
	s_add_u32 s12, s56, s12                                    // 0000000046AC: 800C0C38
	s_addc_u32 s13, 0, s13                                     // 0000000046B0: 820D0D80
	s_add_u32 s16, s79, s16                                    // 0000000046B4: 8010104F
	s_addc_u32 s17, 0, s17                                     // 0000000046B8: 82111180
	s_mov_b32 s80, 0                                           // 0000000046BC: BED00080
	s_waitcnt vmcnt(0) expcnt(0) lgkmcnt(0)                    // 0000000046C0: BF8C0000

00000000000046c4 <label_0631>:
	s_waitcnt vmcnt(21)                                        // 0000000046C4: BF8C4F75
	s_barrier                                                  // 0000000046C8: BF8A0000
	v_mfma_f32_16x16x32_fp8_fp8 v[144:147], a[0:1], v[128:129], 0// 0000000046CC: D3F30090 0A030100
	v_mfma_f32_16x16x32_fp8_fp8 v[144:147], a[2:3], v[130:131], v[144:147]// 0000000046D4: D3F30090 0E430502
	buffer_load_dwordx4 a[32:35], v34, s[12:15], 0 offen       // 0000000046DC: E05C1000 80832022
	v_mfma_f32_16x16x32_fp8_fp8 v[148:151], a[0:1], v[136:137], 0// 0000000046E4: D3F30094 0A031100
	v_mfma_f32_16x16x32_fp8_fp8 v[148:151], a[2:3], v[138:139], v[148:151]// 0000000046EC: D3F30094 0E531502
	v_mfma_f32_16x16x32_fp8_fp8 v[152:155], a[4:5], v[128:129], 0// 0000000046F4: D3F30098 0A030104
	v_mfma_f32_16x16x32_fp8_fp8 v[152:155], a[6:7], v[130:131], v[152:155]// 0000000046FC: D3F30098 0E630506
	buffer_load_dwordx4 a[36:39], v35, s[12:15], 0 offen       // 000000004704: E05C1000 80832423
	v_mfma_f32_16x16x32_fp8_fp8 v[156:159], a[4:5], v[136:137], 0// 00000000470C: D3F3009C 0A031104
	v_mfma_f32_16x16x32_fp8_fp8 v[156:159], a[6:7], v[138:139], v[156:159]// 000000004714: D3F3009C 0E731506
	v_mfma_f32_16x16x32_fp8_fp8 v[160:163], a[8:9], v[128:129], 0// 00000000471C: D3F300A0 0A030108
	v_mfma_f32_16x16x32_fp8_fp8 v[160:163], a[10:11], v[130:131], v[160:163]// 000000004724: D3F300A0 0E83050A
	buffer_load_dwordx4 a[40:43], v36, s[12:15], 0 offen       // 00000000472C: E05C1000 80832824
	v_mfma_f32_16x16x32_fp8_fp8 v[164:167], a[8:9], v[136:137], 0// 000000004734: D3F300A4 0A031108
	v_mfma_f32_16x16x32_fp8_fp8 v[164:167], a[10:11], v[138:139], v[164:167]// 00000000473C: D3F300A4 0E93150A
	v_mfma_f32_16x16x32_fp8_fp8 v[168:171], a[12:13], v[128:129], 0// 000000004744: D3F300A8 0A03010C
	v_mfma_f32_16x16x32_fp8_fp8 v[168:171], a[14:15], v[130:131], v[168:171]// 00000000474C: D3F300A8 0EA3050E
	buffer_load_dwordx4 a[44:47], v37, s[12:15], 0 offen       // 000000004754: E05C1000 80832C25
	s_add_u32 s12, s78, s12                                    // 00000000475C: 800C0C4E
	s_addc_u32 s13, 0, s13                                     // 000000004760: 820D0D80
	v_mfma_f32_16x16x32_fp8_fp8 v[172:175], a[12:13], v[136:137], 0// 000000004764: D3F300AC 0A03110C
	v_mfma_f32_16x16x32_fp8_fp8 v[172:175], a[14:15], v[138:139], v[172:175]// 00000000476C: D3F300AC 0EB3150E
	s_waitcnt vmcnt(20)                                        // 000000004774: BF8C4F74
	v_mfma_f32_16x16x32_fp8_fp8 v[144:147], a[16:17], v[132:133], v[144:147]// 000000004778: D3F30090 0E430910
	v_mfma_f32_16x16x32_fp8_fp8 v[144:147], a[18:19], v[134:135], v[144:147]// 000000004780: D3F30090 0E430D12
	buffer_load_dwordx4 a[48:51], v34, s[12:15], 0 offen       // 000000004788: E05C1000 80833022
	v_mfma_f32_16x16x32_fp8_fp8 v[148:151], a[16:17], v[140:141], v[148:151]// 000000004790: D3F30094 0E531910
	v_mfma_f32_16x16x32_fp8_fp8 v[148:151], a[18:19], v[142:143], v[148:151]// 000000004798: D3F30094 0E531D12
	buffer_load_dword v12, v5, s[16:19], 0 offen               // 0000000047A0: E0501000 80040C05
	v_mfma_f32_16x16x32_fp8_fp8 v[152:155], a[20:21], v[132:133], v[152:155]// 0000000047A8: D3F30098 0E630914
	v_mfma_f32_16x16x32_fp8_fp8 v[152:155], a[22:23], v[134:135], v[152:155]// 0000000047B0: D3F30098 0E630D16
	buffer_load_dwordx4 a[52:55], v35, s[12:15], 0 offen       // 0000000047B8: E05C1000 80833423
	v_mfma_f32_16x16x32_fp8_fp8 v[156:159], a[20:21], v[140:141], v[156:159]// 0000000047C0: D3F3009C 0E731914
	v_mfma_f32_16x16x32_fp8_fp8 v[156:159], a[22:23], v[142:143], v[156:159]// 0000000047C8: D3F3009C 0E731D16
	v_mfma_f32_16x16x32_fp8_fp8 v[160:163], a[24:25], v[132:133], v[160:163]// 0000000047D0: D3F300A0 0E830918
	v_mfma_f32_16x16x32_fp8_fp8 v[160:163], a[26:27], v[134:135], v[160:163]// 0000000047D8: D3F300A0 0E830D1A
	buffer_load_dwordx4 a[56:59], v36, s[12:15], 0 offen       // 0000000047E0: E05C1000 80833824
	v_mfma_f32_16x16x32_fp8_fp8 v[164:167], a[24:25], v[140:141], v[164:167]// 0000000047E8: D3F300A4 0E931918
	v_mfma_f32_16x16x32_fp8_fp8 v[164:167], a[26:27], v[142:143], v[164:167]// 0000000047F0: D3F300A4 0E931D1A
	v_mfma_f32_16x16x32_fp8_fp8 v[168:171], a[28:29], v[132:133], v[168:171]// 0000000047F8: D3F300A8 0EA3091C
	v_mfma_f32_16x16x32_fp8_fp8 v[168:171], a[30:31], v[134:135], v[168:171]// 000000004800: D3F300A8 0EA30D1E
	buffer_load_dwordx4 a[60:63], v37, s[12:15], 0 offen       // 000000004808: E05C1000 80833C25
	v_mfma_f32_16x16x32_fp8_fp8 v[172:175], a[28:29], v[140:141], v[172:175]// 000000004810: D3F300AC 0EB3191C
	v_mfma_f32_16x16x32_fp8_fp8 v[172:175], a[30:31], v[142:143], v[172:175]// 000000004818: D3F300AC 0EB31D1E
	s_add_u32 s60, 0x200, s80                                  // 000000004820: 803C50FF 00000200
	s_cmp_lt_u32 s60, s81                                      // 000000004828: BF0A513C
	s_cselect_b32 s56, s56, 0                                  // 00000000482C: 85388038
	s_cselect_b32 s78, s78, 0                                  // 000000004830: 854E804E
	s_cselect_b32 s79, s79, 0                                  // 000000004834: 854F804F
	s_add_u32 s12, s56, s12                                    // 000000004838: 800C0C38
	s_addc_u32 s13, 0, s13                                     // 00000000483C: 820D0D80
	s_add_u32 s16, s79, s16                                    // 000000004840: 8010104F
	s_addc_u32 s17, 0, s17                                     // 000000004844: 82111180
	v_mul_f32_e32 v144, v22, v144                              // 000000004848: 0B212116
	v_mul_f32_e32 v145, v22, v145                              // 00000000484C: 0B232316
	v_mul_f32_e32 v146, v22, v146                              // 000000004850: 0B252516
	v_mul_f32_e32 v147, v22, v147                              // 000000004854: 0B272716
	v_mul_f32_dpp v144, v11, v144 row_newbcast:0 row_mask:0xf bank_mask:0xf// 000000004858: 0B2120FA FF01500B
	v_mul_f32_dpp v145, v11, v145 row_newbcast:1 row_mask:0xf bank_mask:0xf// 000000004860: 0B2322FA FF01510B
	v_mul_f32_dpp v146, v11, v146 row_newbcast:2 row_mask:0xf bank_mask:0xf// 000000004868: 0B2524FA FF01520B
	v_mul_f32_dpp v147, v11, v147 row_newbcast:3 row_mask:0xf bank_mask:0xf// 000000004870: 0B2726FA FF01530B
	v_mul_f32_e32 v148, v23, v148                              // 000000004878: 0B292917
	v_mul_f32_e32 v149, v23, v149                              // 00000000487C: 0B2B2B17
	v_mul_f32_e32 v150, v23, v150                              // 000000004880: 0B2D2D17
	v_mul_f32_e32 v151, v23, v151                              // 000000004884: 0B2F2F17
	v_mul_f32_dpp v148, v11, v148 row_newbcast:0 row_mask:0xf bank_mask:0xf// 000000004888: 0B2928FA FF01500B
	v_mul_f32_dpp v149, v11, v149 row_newbcast:1 row_mask:0xf bank_mask:0xf// 000000004890: 0B2B2AFA FF01510B
	v_mul_f32_dpp v150, v11, v150 row_newbcast:2 row_mask:0xf bank_mask:0xf// 000000004898: 0B2D2CFA FF01520B
	v_mul_f32_dpp v151, v11, v151 row_newbcast:3 row_mask:0xf bank_mask:0xf// 0000000048A0: 0B2F2EFA FF01530B
	v_mul_f32_e32 v152, v22, v152                              // 0000000048A8: 0B313116
	v_mul_f32_e32 v153, v22, v153                              // 0000000048AC: 0B333316
	v_mul_f32_e32 v154, v22, v154                              // 0000000048B0: 0B353516
	v_mul_f32_e32 v155, v22, v155                              // 0000000048B4: 0B373716
	v_mul_f32_dpp v152, v11, v152 row_newbcast:4 row_mask:0xf bank_mask:0xf// 0000000048B8: 0B3130FA FF01540B
	v_mul_f32_dpp v153, v11, v153 row_newbcast:5 row_mask:0xf bank_mask:0xf// 0000000048C0: 0B3332FA FF01550B
	v_mul_f32_dpp v154, v11, v154 row_newbcast:6 row_mask:0xf bank_mask:0xf// 0000000048C8: 0B3534FA FF01560B
	v_mul_f32_dpp v155, v11, v155 row_newbcast:7 row_mask:0xf bank_mask:0xf// 0000000048D0: 0B3736FA FF01570B
	v_mul_f32_e32 v156, v23, v156                              // 0000000048D8: 0B393917
	v_mul_f32_e32 v157, v23, v157                              // 0000000048DC: 0B3B3B17
	v_mul_f32_e32 v158, v23, v158                              // 0000000048E0: 0B3D3D17
	v_mul_f32_e32 v159, v23, v159                              // 0000000048E4: 0B3F3F17
	v_mul_f32_dpp v156, v11, v156 row_newbcast:4 row_mask:0xf bank_mask:0xf// 0000000048E8: 0B3938FA FF01540B
	v_mul_f32_dpp v157, v11, v157 row_newbcast:5 row_mask:0xf bank_mask:0xf// 0000000048F0: 0B3B3AFA FF01550B
	v_mul_f32_dpp v158, v11, v158 row_newbcast:6 row_mask:0xf bank_mask:0xf// 0000000048F8: 0B3D3CFA FF01560B
	v_mul_f32_dpp v159, v11, v159 row_newbcast:7 row_mask:0xf bank_mask:0xf// 000000004900: 0B3F3EFA FF01570B
	v_mul_f32_e32 v160, v22, v160                              // 000000004908: 0B414116
	v_mul_f32_e32 v161, v22, v161                              // 00000000490C: 0B434316
	v_mul_f32_e32 v162, v22, v162                              // 000000004910: 0B454516
	v_mul_f32_e32 v163, v22, v163                              // 000000004914: 0B474716
	v_mul_f32_dpp v160, v11, v160 row_newbcast:8 row_mask:0xf bank_mask:0xf// 000000004918: 0B4140FA FF01580B
	v_mul_f32_dpp v161, v11, v161 row_newbcast:9 row_mask:0xf bank_mask:0xf// 000000004920: 0B4342FA FF01590B
	v_mul_f32_dpp v162, v11, v162 row_newbcast:10 row_mask:0xf bank_mask:0xf// 000000004928: 0B4544FA FF015A0B
	v_mul_f32_dpp v163, v11, v163 row_newbcast:11 row_mask:0xf bank_mask:0xf// 000000004930: 0B4746FA FF015B0B
	v_mul_f32_e32 v164, v23, v164                              // 000000004938: 0B494917
	v_mul_f32_e32 v165, v23, v165                              // 00000000493C: 0B4B4B17
	v_mul_f32_e32 v166, v23, v166                              // 000000004940: 0B4D4D17
	v_mul_f32_e32 v167, v23, v167                              // 000000004944: 0B4F4F17
	v_mul_f32_dpp v164, v11, v164 row_newbcast:8 row_mask:0xf bank_mask:0xf// 000000004948: 0B4948FA FF01580B
	v_mul_f32_dpp v165, v11, v165 row_newbcast:9 row_mask:0xf bank_mask:0xf// 000000004950: 0B4B4AFA FF01590B
	v_mul_f32_dpp v166, v11, v166 row_newbcast:10 row_mask:0xf bank_mask:0xf// 000000004958: 0B4D4CFA FF015A0B
	v_mul_f32_dpp v167, v11, v167 row_newbcast:11 row_mask:0xf bank_mask:0xf// 000000004960: 0B4F4EFA FF015B0B
	v_mul_f32_e32 v168, v22, v168                              // 000000004968: 0B515116
	v_mul_f32_e32 v169, v22, v169                              // 00000000496C: 0B535316
	v_mul_f32_e32 v170, v22, v170                              // 000000004970: 0B555516
	v_mul_f32_e32 v171, v22, v171                              // 000000004974: 0B575716
	v_mul_f32_dpp v168, v11, v168 row_newbcast:12 row_mask:0xf bank_mask:0xf// 000000004978: 0B5150FA FF015C0B
	v_mul_f32_dpp v169, v11, v169 row_newbcast:13 row_mask:0xf bank_mask:0xf// 000000004980: 0B5352FA FF015D0B
	v_mul_f32_dpp v170, v11, v170 row_newbcast:14 row_mask:0xf bank_mask:0xf// 000000004988: 0B5554FA FF015E0B
	v_mul_f32_dpp v171, v11, v171 row_newbcast:15 row_mask:0xf bank_mask:0xf// 000000004990: 0B5756FA FF015F0B
	v_mul_f32_e32 v172, v23, v172                              // 000000004998: 0B595917
	v_mul_f32_e32 v173, v23, v173                              // 00000000499C: 0B5B5B17
	v_mul_f32_e32 v174, v23, v174                              // 0000000049A0: 0B5D5D17
	v_mul_f32_e32 v175, v23, v175                              // 0000000049A4: 0B5F5F17
	v_mul_f32_dpp v172, v11, v172 row_newbcast:12 row_mask:0xf bank_mask:0xf// 0000000049A8: 0B5958FA FF015C0B
	v_mul_f32_dpp v173, v11, v173 row_newbcast:13 row_mask:0xf bank_mask:0xf// 0000000049B0: 0B5B5AFA FF015D0B
	v_mul_f32_dpp v174, v11, v174 row_newbcast:14 row_mask:0xf bank_mask:0xf// 0000000049B8: 0B5D5CFA FF015E0B
	v_mul_f32_dpp v175, v11, v175 row_newbcast:15 row_mask:0xf bank_mask:0xf// 0000000049C0: 0B5F5EFA FF015F0B
	v_cvt_pkrtz_f16_f32 v144, v144, v145                       // 0000000049C8: D2960090 00032390
	v_cvt_pkrtz_f16_f32 v145, v146, v147                       // 0000000049D0: D2960091 00032792
	v_cvt_pkrtz_f16_f32 v146, v148, v149                       // 0000000049D8: D2960092 00032B94
	v_cvt_pkrtz_f16_f32 v147, v150, v151                       // 0000000049E0: D2960093 00032F96
	v_cvt_pkrtz_f16_f32 v148, v152, v153                       // 0000000049E8: D2960094 00033398
	v_cvt_pkrtz_f16_f32 v149, v154, v155                       // 0000000049F0: D2960095 0003379A
	v_cvt_pkrtz_f16_f32 v150, v156, v157                       // 0000000049F8: D2960096 00033B9C
	v_cvt_pkrtz_f16_f32 v151, v158, v159                       // 000000004A00: D2960097 00033F9E
	v_cvt_pkrtz_f16_f32 v152, v160, v161                       // 000000004A08: D2960098 000343A0
	v_cvt_pkrtz_f16_f32 v153, v162, v163                       // 000000004A10: D2960099 000347A2
	v_cvt_pkrtz_f16_f32 v154, v164, v165                       // 000000004A18: D296009A 00034BA4
	v_cvt_pkrtz_f16_f32 v155, v166, v167                       // 000000004A20: D296009B 00034FA6
	v_cvt_pkrtz_f16_f32 v156, v168, v169                       // 000000004A28: D296009C 000353A8
	v_cvt_pkrtz_f16_f32 v157, v170, v171                       // 000000004A30: D296009D 000357AA
	v_cvt_pkrtz_f16_f32 v158, v172, v173                       // 000000004A38: D296009E 00035BAC
	v_cvt_pkrtz_f16_f32 v159, v174, v175                       // 000000004A40: D296009F 00035FAE
	ds_write_b64 v3, v[144:145] offset:22784                   // 000000004A48: D89A5900 00009003
	ds_write_b64 v3, v[146:147] offset:31488                   // 000000004A50: D89A7B00 00009203
	ds_write_b64 v3, v[148:149] offset:24960                   // 000000004A58: D89A6180 00009403
	ds_write_b64 v3, v[150:151] offset:33664                   // 000000004A60: D89A8380 00009603
	ds_write_b64 v3, v[152:153] offset:27136                   // 000000004A68: D89A6A00 00009803
	ds_write_b64 v3, v[154:155] offset:35840                   // 000000004A70: D89A8C00 00009A03
	ds_write_b64 v3, v[156:157] offset:29312                   // 000000004A78: D89A7280 00009C03
	ds_write_b64 v3, v[158:159] offset:38016                   // 000000004A80: D89A9480 00009E03
	s_waitcnt lgkmcnt(0)                                       // 000000004A88: BF8CC07F
	s_barrier                                                  // 000000004A8C: BF8A0000
	ds_read_b32 v64, v4 offset:22784                           // 000000004A90: D86C5900 40000004
	ds_read_b32 v65, v4 offset:27136                           // 000000004A98: D86C6A00 41000004
	ds_read_b32 v66, v4 offset:22816                           // 000000004AA0: D86C5920 42000004
	ds_read_b32 v67, v4 offset:27168                           // 000000004AA8: D86C6A20 43000004
	ds_read_b32 v68, v4 offset:22848                           // 000000004AB0: D86C5940 44000004
	ds_read_b32 v69, v4 offset:27200                           // 000000004AB8: D86C6A40 45000004
	ds_read_b32 v70, v4 offset:22880                           // 000000004AC0: D86C5960 46000004
	ds_read_b32 v71, v4 offset:27232                           // 000000004AC8: D86C6A60 47000004
	ds_read_b32 v72, v4 offset:31488                           // 000000004AD0: D86C7B00 48000004
	ds_read_b32 v73, v4 offset:35840                           // 000000004AD8: D86C8C00 49000004
	ds_read_b32 v74, v4 offset:31520                           // 000000004AE0: D86C7B20 4A000004
	ds_read_b32 v75, v4 offset:35872                           // 000000004AE8: D86C8C20 4B000004
	ds_read_b32 v76, v4 offset:31552                           // 000000004AF0: D86C7B40 4C000004
	ds_read_b32 v77, v4 offset:35904                           // 000000004AF8: D86C8C40 4D000004
	ds_read_b32 v78, v4 offset:31584                           // 000000004B00: D86C7B60 4E000004
	ds_read_b32 v79, v4 offset:35936                           // 000000004B08: D86C8C60 4F000004
	s_waitcnt lgkmcnt(0)                                       // 000000004B10: BF8CC07F
	s_mov_b64 exec, s[20:21]                                   // 000000004B14: BEFE0114
	global_atomic_pk_add_f16 v80, v64, s[8:9]                  // 000000004B18: DD388000 00084050
	s_mov_b64 exec, s[36:37]                                   // 000000004B20: BEFE0124
	s_mov_b64 exec, s[20:21]                                   // 000000004B24: BEFE0114
	global_atomic_pk_add_f16 v80, v65, s[8:9] offset:256       // 000000004B28: DD388100 00084150
	s_mov_b64 exec, s[36:37]                                   // 000000004B30: BEFE0124
	s_mov_b64 exec, s[22:23]                                   // 000000004B34: BEFE0116
	global_atomic_pk_add_f16 v82, v66, s[8:9]                  // 000000004B38: DD388000 00084252
	s_mov_b64 exec, s[36:37]                                   // 000000004B40: BEFE0124
	s_mov_b64 exec, s[22:23]                                   // 000000004B44: BEFE0116
	global_atomic_pk_add_f16 v82, v67, s[8:9] offset:256       // 000000004B48: DD388100 00084352
	s_mov_b64 exec, s[36:37]                                   // 000000004B50: BEFE0124
	s_mov_b64 exec, s[24:25]                                   // 000000004B54: BEFE0118
	global_atomic_pk_add_f16 v84, v68, s[8:9]                  // 000000004B58: DD388000 00084454
	s_mov_b64 exec, s[36:37]                                   // 000000004B60: BEFE0124
	s_mov_b64 exec, s[24:25]                                   // 000000004B64: BEFE0118
	global_atomic_pk_add_f16 v84, v69, s[8:9] offset:256       // 000000004B68: DD388100 00084554
	s_mov_b64 exec, s[36:37]                                   // 000000004B70: BEFE0124
	s_mov_b64 exec, s[26:27]                                   // 000000004B74: BEFE011A
	global_atomic_pk_add_f16 v86, v70, s[8:9]                  // 000000004B78: DD388000 00084656
	s_mov_b64 exec, s[36:37]                                   // 000000004B80: BEFE0124
	s_mov_b64 exec, s[26:27]                                   // 000000004B84: BEFE011A
	global_atomic_pk_add_f16 v86, v71, s[8:9] offset:256       // 000000004B88: DD388100 00084756
	s_mov_b64 exec, s[36:37]                                   // 000000004B90: BEFE0124
	s_mov_b64 exec, s[28:29]                                   // 000000004B94: BEFE011C
	global_atomic_pk_add_f16 v88, v72, s[8:9]                  // 000000004B98: DD388000 00084858
	s_mov_b64 exec, s[36:37]                                   // 000000004BA0: BEFE0124
	s_mov_b64 exec, s[28:29]                                   // 000000004BA4: BEFE011C
	global_atomic_pk_add_f16 v88, v73, s[8:9] offset:256       // 000000004BA8: DD388100 00084958
	s_mov_b64 exec, s[36:37]                                   // 000000004BB0: BEFE0124
	s_mov_b64 exec, s[30:31]                                   // 000000004BB4: BEFE011E
	global_atomic_pk_add_f16 v90, v74, s[8:9]                  // 000000004BB8: DD388000 00084A5A
	s_mov_b64 exec, s[36:37]                                   // 000000004BC0: BEFE0124
	s_mov_b64 exec, s[30:31]                                   // 000000004BC4: BEFE011E
	global_atomic_pk_add_f16 v90, v75, s[8:9] offset:256       // 000000004BC8: DD388100 00084B5A
	s_mov_b64 exec, s[36:37]                                   // 000000004BD0: BEFE0124
	s_mov_b64 exec, s[32:33]                                   // 000000004BD4: BEFE0120
	global_atomic_pk_add_f16 v92, v76, s[8:9]                  // 000000004BD8: DD388000 00084C5C
	s_mov_b64 exec, s[36:37]                                   // 000000004BE0: BEFE0124
	s_mov_b64 exec, s[32:33]                                   // 000000004BE4: BEFE0120
	global_atomic_pk_add_f16 v92, v77, s[8:9] offset:256       // 000000004BE8: DD388100 00084D5C
	s_mov_b64 exec, s[36:37]                                   // 000000004BF0: BEFE0124
	s_mov_b64 exec, s[34:35]                                   // 000000004BF4: BEFE0122
	global_atomic_pk_add_f16 v94, v78, s[8:9]                  // 000000004BF8: DD388000 00084E5E
	s_mov_b64 exec, s[36:37]                                   // 000000004C00: BEFE0124
	s_mov_b64 exec, s[34:35]                                   // 000000004C04: BEFE0122
	global_atomic_pk_add_f16 v94, v79, s[8:9] offset:256       // 000000004C08: DD388100 00084F5E
	s_mov_b64 exec, s[36:37]                                   // 000000004C10: BEFE0124
	s_add_u32 s8, s59, s8                                      // 000000004C14: 8008083B
	s_addc_u32 s9, 0, s9                                       // 000000004C18: 82090980
	s_addk_i32 s80, 0x100                                      // 000000004C1C: B7500100
	s_cmp_lt_i32 s80, s81                                      // 000000004C20: BF045150
	s_cbranch_scc0 label_08E4                                  // 000000004C24: BF84015A
	s_waitcnt vmcnt(21)                                        // 000000004C28: BF8C4F75
	s_barrier                                                  // 000000004C2C: BF8A0000
	v_mfma_f32_16x16x32_fp8_fp8 v[176:179], a[32:33], v[128:129], 0// 000000004C30: D3F300B0 0A030120
	v_mfma_f32_16x16x32_fp8_fp8 v[176:179], a[34:35], v[130:131], v[176:179]// 000000004C38: D3F300B0 0EC30522
	buffer_load_dwordx4 a[0:3], v34, s[12:15], 0 offen         // 000000004C40: E05C1000 80830022
	v_mfma_f32_16x16x32_fp8_fp8 v[180:183], a[32:33], v[136:137], 0// 000000004C48: D3F300B4 0A031120
	v_mfma_f32_16x16x32_fp8_fp8 v[180:183], a[34:35], v[138:139], v[180:183]// 000000004C50: D3F300B4 0ED31522
	v_mfma_f32_16x16x32_fp8_fp8 v[184:187], a[36:37], v[128:129], 0// 000000004C58: D3F300B8 0A030124
	v_mfma_f32_16x16x32_fp8_fp8 v[184:187], a[38:39], v[130:131], v[184:187]// 000000004C60: D3F300B8 0EE30526
	buffer_load_dwordx4 a[4:7], v35, s[12:15], 0 offen         // 000000004C68: E05C1000 80830423
	v_mfma_f32_16x16x32_fp8_fp8 v[188:191], a[36:37], v[136:137], 0// 000000004C70: D3F300BC 0A031124
	v_mfma_f32_16x16x32_fp8_fp8 v[188:191], a[38:39], v[138:139], v[188:191]// 000000004C78: D3F300BC 0EF31526
	v_mfma_f32_16x16x32_fp8_fp8 v[192:195], a[40:41], v[128:129], 0// 000000004C80: D3F300C0 0A030128
	v_mfma_f32_16x16x32_fp8_fp8 v[192:195], a[42:43], v[130:131], v[192:195]// 000000004C88: D3F300C0 0F03052A
	buffer_load_dwordx4 a[8:11], v36, s[12:15], 0 offen        // 000000004C90: E05C1000 80830824
	v_mfma_f32_16x16x32_fp8_fp8 v[196:199], a[40:41], v[136:137], 0// 000000004C98: D3F300C4 0A031128
	v_mfma_f32_16x16x32_fp8_fp8 v[196:199], a[42:43], v[138:139], v[196:199]// 000000004CA0: D3F300C4 0F13152A
	v_mfma_f32_16x16x32_fp8_fp8 v[200:203], a[44:45], v[128:129], 0// 000000004CA8: D3F300C8 0A03012C
	v_mfma_f32_16x16x32_fp8_fp8 v[200:203], a[46:47], v[130:131], v[200:203]// 000000004CB0: D3F300C8 0F23052E
	buffer_load_dwordx4 a[12:15], v37, s[12:15], 0 offen       // 000000004CB8: E05C1000 80830C25
	s_add_u32 s12, s78, s12                                    // 000000004CC0: 800C0C4E
	s_addc_u32 s13, 0, s13                                     // 000000004CC4: 820D0D80
	v_mfma_f32_16x16x32_fp8_fp8 v[204:207], a[44:45], v[136:137], 0// 000000004CC8: D3F300CC 0A03112C
	v_mfma_f32_16x16x32_fp8_fp8 v[204:207], a[46:47], v[138:139], v[204:207]// 000000004CD0: D3F300CC 0F33152E
	s_waitcnt vmcnt(20)                                        // 000000004CD8: BF8C4F74
	v_mfma_f32_16x16x32_fp8_fp8 v[176:179], a[48:49], v[132:133], v[176:179]// 000000004CDC: D3F300B0 0EC30930
	v_mfma_f32_16x16x32_fp8_fp8 v[176:179], a[50:51], v[134:135], v[176:179]// 000000004CE4: D3F300B0 0EC30D32
	buffer_load_dwordx4 a[16:19], v34, s[12:15], 0 offen       // 000000004CEC: E05C1000 80831022
	v_mfma_f32_16x16x32_fp8_fp8 v[180:183], a[48:49], v[140:141], v[180:183]// 000000004CF4: D3F300B4 0ED31930
	v_mfma_f32_16x16x32_fp8_fp8 v[180:183], a[50:51], v[142:143], v[180:183]// 000000004CFC: D3F300B4 0ED31D32
	buffer_load_dword v11, v5, s[16:19], 0 offen               // 000000004D04: E0501000 80040B05
	v_mfma_f32_16x16x32_fp8_fp8 v[184:187], a[52:53], v[132:133], v[184:187]// 000000004D0C: D3F300B8 0EE30934
	v_mfma_f32_16x16x32_fp8_fp8 v[184:187], a[54:55], v[134:135], v[184:187]// 000000004D14: D3F300B8 0EE30D36
	buffer_load_dwordx4 a[20:23], v35, s[12:15], 0 offen       // 000000004D1C: E05C1000 80831423
	v_mfma_f32_16x16x32_fp8_fp8 v[188:191], a[52:53], v[140:141], v[188:191]// 000000004D24: D3F300BC 0EF31934
	v_mfma_f32_16x16x32_fp8_fp8 v[188:191], a[54:55], v[142:143], v[188:191]// 000000004D2C: D3F300BC 0EF31D36
	v_mfma_f32_16x16x32_fp8_fp8 v[192:195], a[56:57], v[132:133], v[192:195]// 000000004D34: D3F300C0 0F030938
	v_mfma_f32_16x16x32_fp8_fp8 v[192:195], a[58:59], v[134:135], v[192:195]// 000000004D3C: D3F300C0 0F030D3A
	buffer_load_dwordx4 a[24:27], v36, s[12:15], 0 offen       // 000000004D44: E05C1000 80831824
	v_mfma_f32_16x16x32_fp8_fp8 v[196:199], a[56:57], v[140:141], v[196:199]// 000000004D4C: D3F300C4 0F131938
	v_mfma_f32_16x16x32_fp8_fp8 v[196:199], a[58:59], v[142:143], v[196:199]// 000000004D54: D3F300C4 0F131D3A
	v_mfma_f32_16x16x32_fp8_fp8 v[200:203], a[60:61], v[132:133], v[200:203]// 000000004D5C: D3F300C8 0F23093C
	v_mfma_f32_16x16x32_fp8_fp8 v[200:203], a[62:63], v[134:135], v[200:203]// 000000004D64: D3F300C8 0F230D3E
	buffer_load_dwordx4 a[28:31], v37, s[12:15], 0 offen       // 000000004D6C: E05C1000 80831C25
	v_mfma_f32_16x16x32_fp8_fp8 v[204:207], a[60:61], v[140:141], v[204:207]// 000000004D74: D3F300CC 0F33193C
	v_mfma_f32_16x16x32_fp8_fp8 v[204:207], a[62:63], v[142:143], v[204:207]// 000000004D7C: D3F300CC 0F331D3E
	s_add_u32 s60, 0x200, s80                                  // 000000004D84: 803C50FF 00000200
	s_cmp_lt_u32 s60, s81                                      // 000000004D8C: BF0A513C
	s_cselect_b32 s56, s56, 0                                  // 000000004D90: 85388038
	s_cselect_b32 s78, s78, 0                                  // 000000004D94: 854E804E
	s_cselect_b32 s79, s79, 0                                  // 000000004D98: 854F804F
	s_add_u32 s12, s56, s12                                    // 000000004D9C: 800C0C38
	s_addc_u32 s13, 0, s13                                     // 000000004DA0: 820D0D80
	s_add_u32 s16, s79, s16                                    // 000000004DA4: 8010104F
	s_addc_u32 s17, 0, s17                                     // 000000004DA8: 82111180
	v_mul_f32_e32 v176, v22, v176                              // 000000004DAC: 0B616116
	v_mul_f32_e32 v177, v22, v177                              // 000000004DB0: 0B636316
	v_mul_f32_e32 v178, v22, v178                              // 000000004DB4: 0B656516
	v_mul_f32_e32 v179, v22, v179                              // 000000004DB8: 0B676716
	v_mul_f32_dpp v176, v12, v176 row_newbcast:0 row_mask:0xf bank_mask:0xf// 000000004DBC: 0B6160FA FF01500C
	v_mul_f32_dpp v177, v12, v177 row_newbcast:1 row_mask:0xf bank_mask:0xf// 000000004DC4: 0B6362FA FF01510C
	v_mul_f32_dpp v178, v12, v178 row_newbcast:2 row_mask:0xf bank_mask:0xf// 000000004DCC: 0B6564FA FF01520C
	v_mul_f32_dpp v179, v12, v179 row_newbcast:3 row_mask:0xf bank_mask:0xf// 000000004DD4: 0B6766FA FF01530C
	v_mul_f32_e32 v180, v23, v180                              // 000000004DDC: 0B696917
	v_mul_f32_e32 v181, v23, v181                              // 000000004DE0: 0B6B6B17
	v_mul_f32_e32 v182, v23, v182                              // 000000004DE4: 0B6D6D17
	v_mul_f32_e32 v183, v23, v183                              // 000000004DE8: 0B6F6F17
	v_mul_f32_dpp v180, v12, v180 row_newbcast:0 row_mask:0xf bank_mask:0xf// 000000004DEC: 0B6968FA FF01500C
	v_mul_f32_dpp v181, v12, v181 row_newbcast:1 row_mask:0xf bank_mask:0xf// 000000004DF4: 0B6B6AFA FF01510C
	v_mul_f32_dpp v182, v12, v182 row_newbcast:2 row_mask:0xf bank_mask:0xf// 000000004DFC: 0B6D6CFA FF01520C
	v_mul_f32_dpp v183, v12, v183 row_newbcast:3 row_mask:0xf bank_mask:0xf// 000000004E04: 0B6F6EFA FF01530C
	v_mul_f32_e32 v184, v22, v184                              // 000000004E0C: 0B717116
	v_mul_f32_e32 v185, v22, v185                              // 000000004E10: 0B737316
	v_mul_f32_e32 v186, v22, v186                              // 000000004E14: 0B757516
	v_mul_f32_e32 v187, v22, v187                              // 000000004E18: 0B777716
	v_mul_f32_dpp v184, v12, v184 row_newbcast:4 row_mask:0xf bank_mask:0xf// 000000004E1C: 0B7170FA FF01540C
	v_mul_f32_dpp v185, v12, v185 row_newbcast:5 row_mask:0xf bank_mask:0xf// 000000004E24: 0B7372FA FF01550C
	v_mul_f32_dpp v186, v12, v186 row_newbcast:6 row_mask:0xf bank_mask:0xf// 000000004E2C: 0B7574FA FF01560C
	v_mul_f32_dpp v187, v12, v187 row_newbcast:7 row_mask:0xf bank_mask:0xf// 000000004E34: 0B7776FA FF01570C
	v_mul_f32_e32 v188, v23, v188                              // 000000004E3C: 0B797917
	v_mul_f32_e32 v189, v23, v189                              // 000000004E40: 0B7B7B17
	v_mul_f32_e32 v190, v23, v190                              // 000000004E44: 0B7D7D17
	v_mul_f32_e32 v191, v23, v191                              // 000000004E48: 0B7F7F17
	v_mul_f32_dpp v188, v12, v188 row_newbcast:4 row_mask:0xf bank_mask:0xf// 000000004E4C: 0B7978FA FF01540C
	v_mul_f32_dpp v189, v12, v189 row_newbcast:5 row_mask:0xf bank_mask:0xf// 000000004E54: 0B7B7AFA FF01550C
	v_mul_f32_dpp v190, v12, v190 row_newbcast:6 row_mask:0xf bank_mask:0xf// 000000004E5C: 0B7D7CFA FF01560C
	v_mul_f32_dpp v191, v12, v191 row_newbcast:7 row_mask:0xf bank_mask:0xf// 000000004E64: 0B7F7EFA FF01570C
	v_mul_f32_e32 v192, v22, v192                              // 000000004E6C: 0B818116
	v_mul_f32_e32 v193, v22, v193                              // 000000004E70: 0B838316
	v_mul_f32_e32 v194, v22, v194                              // 000000004E74: 0B858516
	v_mul_f32_e32 v195, v22, v195                              // 000000004E78: 0B878716
	v_mul_f32_dpp v192, v12, v192 row_newbcast:8 row_mask:0xf bank_mask:0xf// 000000004E7C: 0B8180FA FF01580C
	v_mul_f32_dpp v193, v12, v193 row_newbcast:9 row_mask:0xf bank_mask:0xf// 000000004E84: 0B8382FA FF01590C
	v_mul_f32_dpp v194, v12, v194 row_newbcast:10 row_mask:0xf bank_mask:0xf// 000000004E8C: 0B8584FA FF015A0C
	v_mul_f32_dpp v195, v12, v195 row_newbcast:11 row_mask:0xf bank_mask:0xf// 000000004E94: 0B8786FA FF015B0C
	v_mul_f32_e32 v196, v23, v196                              // 000000004E9C: 0B898917
	v_mul_f32_e32 v197, v23, v197                              // 000000004EA0: 0B8B8B17
	v_mul_f32_e32 v198, v23, v198                              // 000000004EA4: 0B8D8D17
	v_mul_f32_e32 v199, v23, v199                              // 000000004EA8: 0B8F8F17
	v_mul_f32_dpp v196, v12, v196 row_newbcast:8 row_mask:0xf bank_mask:0xf// 000000004EAC: 0B8988FA FF01580C
	v_mul_f32_dpp v197, v12, v197 row_newbcast:9 row_mask:0xf bank_mask:0xf// 000000004EB4: 0B8B8AFA FF01590C
	v_mul_f32_dpp v198, v12, v198 row_newbcast:10 row_mask:0xf bank_mask:0xf// 000000004EBC: 0B8D8CFA FF015A0C
	v_mul_f32_dpp v199, v12, v199 row_newbcast:11 row_mask:0xf bank_mask:0xf// 000000004EC4: 0B8F8EFA FF015B0C
	v_mul_f32_e32 v200, v22, v200                              // 000000004ECC: 0B919116
	v_mul_f32_e32 v201, v22, v201                              // 000000004ED0: 0B939316
	v_mul_f32_e32 v202, v22, v202                              // 000000004ED4: 0B959516
	v_mul_f32_e32 v203, v22, v203                              // 000000004ED8: 0B979716
	v_mul_f32_dpp v200, v12, v200 row_newbcast:12 row_mask:0xf bank_mask:0xf// 000000004EDC: 0B9190FA FF015C0C
	v_mul_f32_dpp v201, v12, v201 row_newbcast:13 row_mask:0xf bank_mask:0xf// 000000004EE4: 0B9392FA FF015D0C
	v_mul_f32_dpp v202, v12, v202 row_newbcast:14 row_mask:0xf bank_mask:0xf// 000000004EEC: 0B9594FA FF015E0C
	v_mul_f32_dpp v203, v12, v203 row_newbcast:15 row_mask:0xf bank_mask:0xf// 000000004EF4: 0B9796FA FF015F0C
	v_mul_f32_e32 v204, v23, v204                              // 000000004EFC: 0B999917
	v_mul_f32_e32 v205, v23, v205                              // 000000004F00: 0B9B9B17
	v_mul_f32_e32 v206, v23, v206                              // 000000004F04: 0B9D9D17
	v_mul_f32_e32 v207, v23, v207                              // 000000004F08: 0B9F9F17
	v_mul_f32_dpp v204, v12, v204 row_newbcast:12 row_mask:0xf bank_mask:0xf// 000000004F0C: 0B9998FA FF015C0C
	v_mul_f32_dpp v205, v12, v205 row_newbcast:13 row_mask:0xf bank_mask:0xf// 000000004F14: 0B9B9AFA FF015D0C
	v_mul_f32_dpp v206, v12, v206 row_newbcast:14 row_mask:0xf bank_mask:0xf// 000000004F1C: 0B9D9CFA FF015E0C
	v_mul_f32_dpp v207, v12, v207 row_newbcast:15 row_mask:0xf bank_mask:0xf// 000000004F24: 0B9F9EFA FF015F0C
	v_cvt_pkrtz_f16_f32 v176, v176, v177                       // 000000004F2C: D29600B0 000363B0
	v_cvt_pkrtz_f16_f32 v177, v178, v179                       // 000000004F34: D29600B1 000367B2
	v_cvt_pkrtz_f16_f32 v178, v180, v181                       // 000000004F3C: D29600B2 00036BB4
	v_cvt_pkrtz_f16_f32 v179, v182, v183                       // 000000004F44: D29600B3 00036FB6
	v_cvt_pkrtz_f16_f32 v180, v184, v185                       // 000000004F4C: D29600B4 000373B8
	v_cvt_pkrtz_f16_f32 v181, v186, v187                       // 000000004F54: D29600B5 000377BA
	v_cvt_pkrtz_f16_f32 v182, v188, v189                       // 000000004F5C: D29600B6 00037BBC
	v_cvt_pkrtz_f16_f32 v183, v190, v191                       // 000000004F64: D29600B7 00037FBE
	v_cvt_pkrtz_f16_f32 v184, v192, v193                       // 000000004F6C: D29600B8 000383C0
	v_cvt_pkrtz_f16_f32 v185, v194, v195                       // 000000004F74: D29600B9 000387C2
	v_cvt_pkrtz_f16_f32 v186, v196, v197                       // 000000004F7C: D29600BA 00038BC4
	v_cvt_pkrtz_f16_f32 v187, v198, v199                       // 000000004F84: D29600BB 00038FC6
	v_cvt_pkrtz_f16_f32 v188, v200, v201                       // 000000004F8C: D29600BC 000393C8
	v_cvt_pkrtz_f16_f32 v189, v202, v203                       // 000000004F94: D29600BD 000397CA
	v_cvt_pkrtz_f16_f32 v190, v204, v205                       // 000000004F9C: D29600BE 00039BCC
	v_cvt_pkrtz_f16_f32 v191, v206, v207                       // 000000004FA4: D29600BF 00039FCE
	ds_write_b64 v3, v[176:177] offset:22784                   // 000000004FAC: D89A5900 0000B003
	ds_write_b64 v3, v[178:179] offset:31488                   // 000000004FB4: D89A7B00 0000B203
	ds_write_b64 v3, v[180:181] offset:24960                   // 000000004FBC: D89A6180 0000B403
	ds_write_b64 v3, v[182:183] offset:33664                   // 000000004FC4: D89A8380 0000B603
	ds_write_b64 v3, v[184:185] offset:27136                   // 000000004FCC: D89A6A00 0000B803
	ds_write_b64 v3, v[186:187] offset:35840                   // 000000004FD4: D89A8C00 0000BA03
	ds_write_b64 v3, v[188:189] offset:29312                   // 000000004FDC: D89A7280 0000BC03
	ds_write_b64 v3, v[190:191] offset:38016                   // 000000004FE4: D89A9480 0000BE03
	s_waitcnt lgkmcnt(0)                                       // 000000004FEC: BF8CC07F
	s_barrier                                                  // 000000004FF0: BF8A0000
	ds_read_b32 v64, v4 offset:22784                           // 000000004FF4: D86C5900 40000004
	ds_read_b32 v65, v4 offset:27136                           // 000000004FFC: D86C6A00 41000004
	ds_read_b32 v66, v4 offset:22816                           // 000000005004: D86C5920 42000004
	ds_read_b32 v67, v4 offset:27168                           // 00000000500C: D86C6A20 43000004
	ds_read_b32 v68, v4 offset:22848                           // 000000005014: D86C5940 44000004
	ds_read_b32 v69, v4 offset:27200                           // 00000000501C: D86C6A40 45000004
	ds_read_b32 v70, v4 offset:22880                           // 000000005024: D86C5960 46000004
	ds_read_b32 v71, v4 offset:27232                           // 00000000502C: D86C6A60 47000004
	ds_read_b32 v72, v4 offset:31488                           // 000000005034: D86C7B00 48000004
	ds_read_b32 v73, v4 offset:35840                           // 00000000503C: D86C8C00 49000004
	ds_read_b32 v74, v4 offset:31520                           // 000000005044: D86C7B20 4A000004
	ds_read_b32 v75, v4 offset:35872                           // 00000000504C: D86C8C20 4B000004
	ds_read_b32 v76, v4 offset:31552                           // 000000005054: D86C7B40 4C000004
	ds_read_b32 v77, v4 offset:35904                           // 00000000505C: D86C8C40 4D000004
	ds_read_b32 v78, v4 offset:31584                           // 000000005064: D86C7B60 4E000004
	ds_read_b32 v79, v4 offset:35936                           // 00000000506C: D86C8C60 4F000004
	s_waitcnt lgkmcnt(0)                                       // 000000005074: BF8CC07F
	s_mov_b64 exec, s[20:21]                                   // 000000005078: BEFE0114
	global_atomic_pk_add_f16 v80, v64, s[8:9]                  // 00000000507C: DD388000 00084050
	s_mov_b64 exec, s[36:37]                                   // 000000005084: BEFE0124
	s_mov_b64 exec, s[20:21]                                   // 000000005088: BEFE0114
	global_atomic_pk_add_f16 v80, v65, s[8:9] offset:256       // 00000000508C: DD388100 00084150
	s_mov_b64 exec, s[36:37]                                   // 000000005094: BEFE0124
	s_mov_b64 exec, s[22:23]                                   // 000000005098: BEFE0116
	global_atomic_pk_add_f16 v82, v66, s[8:9]                  // 00000000509C: DD388000 00084252
	s_mov_b64 exec, s[36:37]                                   // 0000000050A4: BEFE0124
	s_mov_b64 exec, s[22:23]                                   // 0000000050A8: BEFE0116
	global_atomic_pk_add_f16 v82, v67, s[8:9] offset:256       // 0000000050AC: DD388100 00084352
	s_mov_b64 exec, s[36:37]                                   // 0000000050B4: BEFE0124
	s_mov_b64 exec, s[24:25]                                   // 0000000050B8: BEFE0118
	global_atomic_pk_add_f16 v84, v68, s[8:9]                  // 0000000050BC: DD388000 00084454
	s_mov_b64 exec, s[36:37]                                   // 0000000050C4: BEFE0124
	s_mov_b64 exec, s[24:25]                                   // 0000000050C8: BEFE0118
	global_atomic_pk_add_f16 v84, v69, s[8:9] offset:256       // 0000000050CC: DD388100 00084554
	s_mov_b64 exec, s[36:37]                                   // 0000000050D4: BEFE0124
	s_mov_b64 exec, s[26:27]                                   // 0000000050D8: BEFE011A
	global_atomic_pk_add_f16 v86, v70, s[8:9]                  // 0000000050DC: DD388000 00084656
	s_mov_b64 exec, s[36:37]                                   // 0000000050E4: BEFE0124
	s_mov_b64 exec, s[26:27]                                   // 0000000050E8: BEFE011A
	global_atomic_pk_add_f16 v86, v71, s[8:9] offset:256       // 0000000050EC: DD388100 00084756
	s_mov_b64 exec, s[36:37]                                   // 0000000050F4: BEFE0124
	s_mov_b64 exec, s[28:29]                                   // 0000000050F8: BEFE011C
	global_atomic_pk_add_f16 v88, v72, s[8:9]                  // 0000000050FC: DD388000 00084858
	s_mov_b64 exec, s[36:37]                                   // 000000005104: BEFE0124
	s_mov_b64 exec, s[28:29]                                   // 000000005108: BEFE011C
	global_atomic_pk_add_f16 v88, v73, s[8:9] offset:256       // 00000000510C: DD388100 00084958
	s_mov_b64 exec, s[36:37]                                   // 000000005114: BEFE0124
	s_mov_b64 exec, s[30:31]                                   // 000000005118: BEFE011E
	global_atomic_pk_add_f16 v90, v74, s[8:9]                  // 00000000511C: DD388000 00084A5A
	s_mov_b64 exec, s[36:37]                                   // 000000005124: BEFE0124
	s_mov_b64 exec, s[30:31]                                   // 000000005128: BEFE011E
	global_atomic_pk_add_f16 v90, v75, s[8:9] offset:256       // 00000000512C: DD388100 00084B5A
	s_mov_b64 exec, s[36:37]                                   // 000000005134: BEFE0124
	s_mov_b64 exec, s[32:33]                                   // 000000005138: BEFE0120
	global_atomic_pk_add_f16 v92, v76, s[8:9]                  // 00000000513C: DD388000 00084C5C
	s_mov_b64 exec, s[36:37]                                   // 000000005144: BEFE0124
	s_mov_b64 exec, s[32:33]                                   // 000000005148: BEFE0120
	global_atomic_pk_add_f16 v92, v77, s[8:9] offset:256       // 00000000514C: DD388100 00084D5C
	s_mov_b64 exec, s[36:37]                                   // 000000005154: BEFE0124
	s_mov_b64 exec, s[34:35]                                   // 000000005158: BEFE0122
	global_atomic_pk_add_f16 v94, v78, s[8:9]                  // 00000000515C: DD388000 00084E5E
	s_mov_b64 exec, s[36:37]                                   // 000000005164: BEFE0124
	s_mov_b64 exec, s[34:35]                                   // 000000005168: BEFE0122
	global_atomic_pk_add_f16 v94, v79, s[8:9] offset:256       // 00000000516C: DD388100 00084F5E
	s_mov_b64 exec, s[36:37]                                   // 000000005174: BEFE0124
	s_add_u32 s8, s59, s8                                      // 000000005178: 8008083B
	s_addc_u32 s9, 0, s9                                       // 00000000517C: 82090980
	s_addk_i32 s80, 0x100                                      // 000000005180: B7500100
	s_cmp_lt_i32 s80, s81                                      // 000000005184: BF045150
	s_cbranch_scc0 label_08E4                                  // 000000005188: BF840001
	s_branch label_0631                                        // 00000000518C: BF82FD4D

0000000000005190 <label_08E4>:
	s_nop 0                                                    // 000000005190: BF800000
	s_nop 0                                                    // 000000005194: BF800000
	s_branch label_0F67                                        // 000000005198: BF820680

000000000000519c <label_08E7>:
	s_waitcnt vmcnt(0) lgkmcnt(0)                              // 00000000519C: BF8C0070
	s_barrier                                                  // 0000000051A0: BF8A0000
	v_mfma_f32_16x16x32_fp8_fp8 v[128:131], a[0:1], v[144:145], v[128:131]// 0000000051A4: D3F30080 0E032100
	buffer_load_dwordx4 a[32:35], v32, s[92:95], 0 offen       // 0000000051AC: E05C1000 80972020
	v_mfma_f32_16x16x32_fp8_fp8 v[128:131], a[2:3], v[146:147], v[128:131]// 0000000051B4: D3F30080 0E032502
	v_mfma_f32_16x16x32_fp8_fp8 v[128:131], a[4:5], v[148:149], v[128:131]// 0000000051BC: D3F30080 0E032904
	buffer_load_dword v24, s[20:23], 0 offen lds               // 0000000051C4: E0511000 80050018
	s_add_u32 m0, 0x100, s51                                   // 0000000051CC: 807C33FF 00000100
	v_mfma_f32_16x16x32_fp8_fp8 v[128:131], a[6:7], v[150:151], v[128:131]// 0000000051D4: D3F30080 0E032D06
	v_mfma_f32_16x16x32_fp8_fp8 v[128:131], a[8:9], v[152:153], v[128:131]// 0000000051DC: D3F30080 0E033108
	buffer_load_dwordx4 a[36:39], v32, s[92:95], 0 offen offset:1024// 0000000051E4: E05C1400 80972420
	v_mfma_f32_16x16x32_fp8_fp8 v[128:131], a[10:11], v[154:155], v[128:131]// 0000000051EC: D3F30080 0E03350A
	v_mfma_f32_16x16x32_fp8_fp8 v[128:131], a[12:13], v[156:157], v[128:131]// 0000000051F4: D3F30080 0E03390C
	buffer_load_dword v25, s[20:23], 0 offen lds               // 0000000051FC: E0511000 80050019
	s_add_u32 m0, 0x200, s51                                   // 000000005204: 807C33FF 00000200
	v_mfma_f32_16x16x32_fp8_fp8 v[128:131], a[14:15], v[158:159], v[128:131]// 00000000520C: D3F30080 0E033D0E
	v_mfma_f32_16x16x32_fp8_fp8 v[132:135], a[0:1], v[160:161], v[132:135]// 000000005214: D3F30084 0E134100
	buffer_load_dwordx4 a[40:43], v32, s[92:95], 0 offen offset:2048// 00000000521C: E05C1800 80972820
	v_mfma_f32_16x16x32_fp8_fp8 v[132:135], a[2:3], v[162:163], v[132:135]// 000000005224: D3F30084 0E134502
	v_mfma_f32_16x16x32_fp8_fp8 v[132:135], a[4:5], v[164:165], v[132:135]// 00000000522C: D3F30084 0E134904
	buffer_load_dword v26, s[20:23], 0 offen lds               // 000000005234: E0511000 8005001A
	s_add_u32 m0, 0x300, s51                                   // 00000000523C: 807C33FF 00000300
	v_mfma_f32_16x16x32_fp8_fp8 v[132:135], a[6:7], v[166:167], v[132:135]// 000000005244: D3F30084 0E134D06
	v_mfma_f32_16x16x32_fp8_fp8 v[132:135], a[8:9], v[168:169], v[132:135]// 00000000524C: D3F30084 0E135108
	buffer_load_dwordx4 a[44:47], v32, s[92:95], 0 offen offset:3072// 000000005254: E05C1C00 80972C20
	v_mfma_f32_16x16x32_fp8_fp8 v[132:135], a[10:11], v[170:171], v[132:135]// 00000000525C: D3F30084 0E13550A
	v_mfma_f32_16x16x32_fp8_fp8 v[132:135], a[12:13], v[172:173], v[132:135]// 000000005264: D3F30084 0E13590C
	buffer_load_dword v27, s[20:23], 0 offen lds               // 00000000526C: E0511000 8005001B
	s_add_u32 m0, 0x400, s51                                   // 000000005274: 807C33FF 00000400
	v_mfma_f32_16x16x32_fp8_fp8 v[132:135], a[14:15], v[174:175], v[132:135]// 00000000527C: D3F30084 0E135D0E
	v_mfma_f32_16x16x32_fp8_fp8 v[136:139], a[16:17], v[144:145], v[136:139]// 000000005284: D3F30088 0E232110
	buffer_load_dwordx4 a[48:51], v33, s[92:95], 0 offen       // 00000000528C: E05C1000 80973021
	v_mfma_f32_16x16x32_fp8_fp8 v[136:139], a[18:19], v[146:147], v[136:139]// 000000005294: D3F30088 0E232512
	v_mfma_f32_16x16x32_fp8_fp8 v[136:139], a[20:21], v[148:149], v[136:139]// 00000000529C: D3F30088 0E232914
	buffer_load_dword v28, s[20:23], 0 offen lds               // 0000000052A4: E0511000 8005001C
	s_add_u32 m0, 0x500, s51                                   // 0000000052AC: 807C33FF 00000500
	v_mfma_f32_16x16x32_fp8_fp8 v[136:139], a[22:23], v[150:151], v[136:139]// 0000000052B4: D3F30088 0E232D16
	v_mfma_f32_16x16x32_fp8_fp8 v[136:139], a[24:25], v[152:153], v[136:139]// 0000000052BC: D3F30088 0E233118
	buffer_load_dwordx4 a[52:55], v33, s[92:95], 0 offen offset:1024// 0000000052C4: E05C1400 80973421
	v_mfma_f32_16x16x32_fp8_fp8 v[136:139], a[26:27], v[154:155], v[136:139]// 0000000052CC: D3F30088 0E23351A
	v_mfma_f32_16x16x32_fp8_fp8 v[136:139], a[28:29], v[156:157], v[136:139]// 0000000052D4: D3F30088 0E23391C
	buffer_load_dword v29, s[20:23], 0 offen lds               // 0000000052DC: E0511000 8005001D
	s_add_u32 m0, 0x600, s51                                   // 0000000052E4: 807C33FF 00000600
	v_mfma_f32_16x16x32_fp8_fp8 v[136:139], a[30:31], v[158:159], v[136:139]// 0000000052EC: D3F30088 0E233D1E
	v_mfma_f32_16x16x32_fp8_fp8 v[140:143], a[16:17], v[160:161], v[140:143]// 0000000052F4: D3F3008C 0E334110
	buffer_load_dwordx4 a[56:59], v33, s[92:95], 0 offen offset:2048// 0000000052FC: E05C1800 80973821
	v_mfma_f32_16x16x32_fp8_fp8 v[140:143], a[18:19], v[162:163], v[140:143]// 000000005304: D3F3008C 0E334512
	v_mfma_f32_16x16x32_fp8_fp8 v[140:143], a[20:21], v[164:165], v[140:143]// 00000000530C: D3F3008C 0E334914
	buffer_load_dword v30, s[20:23], 0 offen lds               // 000000005314: E0511000 8005001E
	s_add_u32 m0, 0x700, s51                                   // 00000000531C: 807C33FF 00000700
	v_mfma_f32_16x16x32_fp8_fp8 v[140:143], a[22:23], v[166:167], v[140:143]// 000000005324: D3F3008C 0E334D16
	v_mfma_f32_16x16x32_fp8_fp8 v[140:143], a[24:25], v[168:169], v[140:143]// 00000000532C: D3F3008C 0E335118
	buffer_load_dwordx4 a[60:63], v33, s[92:95], 0 offen offset:3072// 000000005334: E05C1C00 80973C21
	v_mfma_f32_16x16x32_fp8_fp8 v[140:143], a[26:27], v[170:171], v[140:143]// 00000000533C: D3F3008C 0E33551A
	v_mfma_f32_16x16x32_fp8_fp8 v[140:143], a[28:29], v[172:173], v[140:143]// 000000005344: D3F3008C 0E33591C
	buffer_load_dword v31, s[20:23], 0 offen lds               // 00000000534C: E0511000 8005001F
	s_add_u32 m0, 0, s50                                       // 000000005354: 807C3280
	v_mfma_f32_16x16x32_fp8_fp8 v[140:143], a[30:31], v[174:175], v[140:143]// 000000005358: D3F3008C 0E335D1E
	s_waitcnt vmcnt(0)                                         // 000000005360: BF8C0F70
	s_barrier                                                  // 000000005364: BF8A0000
	v_mfma_f32_16x16x32_fp8_fp8 v[64:67], a[32:33], v[144:145], v[64:67]// 000000005368: D3F30040 0D032120
	buffer_load_dwordx4 a[0:3], v32, s[24:27], 0 offen         // 000000005370: E05C1000 80860020
	v_mfma_f32_16x16x32_fp8_fp8 v[64:67], a[34:35], v[146:147], v[64:67]// 000000005378: D3F30040 0D032522
	v_mfma_f32_16x16x32_fp8_fp8 v[64:67], a[36:37], v[148:149], v[64:67]// 000000005380: D3F30040 0D032924
	ds_read_b128 v[176:179], v2 offset:8320                    // 000000005388: D9FE2080 B0000002
	v_mfma_f32_16x16x32_fp8_fp8 v[64:67], a[38:39], v[150:151], v[64:67]// 000000005390: D3F30040 0D032D26
	v_mfma_f32_16x16x32_fp8_fp8 v[64:67], a[40:41], v[152:153], v[64:67]// 000000005398: D3F30040 0D033128
	buffer_load_dwordx4 a[4:7], v32, s[24:27], 0 offen offset:1024// 0000000053A0: E05C1400 80860420
	v_mfma_f32_16x16x32_fp8_fp8 v[64:67], a[42:43], v[154:155], v[64:67]// 0000000053A8: D3F30040 0D03352A
	v_mfma_f32_16x16x32_fp8_fp8 v[64:67], a[44:45], v[156:157], v[64:67]// 0000000053B0: D3F30040 0D03392C
	ds_read_b128 v[180:183], v2 offset:8384                    // 0000000053B8: D9FE20C0 B4000002
	v_mfma_f32_16x16x32_fp8_fp8 v[64:67], a[46:47], v[158:159], v[64:67]// 0000000053C0: D3F30040 0D033D2E
	v_mfma_f32_16x16x32_fp8_fp8 v[68:71], a[32:33], v[160:161], v[68:71]// 0000000053C8: D3F30044 0D134120
	buffer_load_dwordx4 a[8:11], v32, s[24:27], 0 offen offset:2048// 0000000053D0: E05C1800 80860820
	v_mfma_f32_16x16x32_fp8_fp8 v[68:71], a[34:35], v[162:163], v[68:71]// 0000000053D8: D3F30044 0D134522
	v_mfma_f32_16x16x32_fp8_fp8 v[68:71], a[36:37], v[164:165], v[68:71]// 0000000053E0: D3F30044 0D134924
	ds_read_b128 v[184:187], v2 offset:8448                    // 0000000053E8: D9FE2100 B8000002
	v_mfma_f32_16x16x32_fp8_fp8 v[68:71], a[38:39], v[166:167], v[68:71]// 0000000053F0: D3F30044 0D134D26
	v_mfma_f32_16x16x32_fp8_fp8 v[68:71], a[40:41], v[168:169], v[68:71]// 0000000053F8: D3F30044 0D135128
	buffer_load_dwordx4 a[12:15], v32, s[24:27], 0 offen offset:3072// 000000005400: E05C1C00 80860C20
	v_mfma_f32_16x16x32_fp8_fp8 v[68:71], a[42:43], v[170:171], v[68:71]// 000000005408: D3F30044 0D13552A
	v_mfma_f32_16x16x32_fp8_fp8 v[68:71], a[44:45], v[172:173], v[68:71]// 000000005410: D3F30044 0D13592C
	ds_read_b128 v[188:191], v2 offset:8512                    // 000000005418: D9FE2140 BC000002
	v_mfma_f32_16x16x32_fp8_fp8 v[68:71], a[46:47], v[174:175], v[68:71]// 000000005420: D3F30044 0D135D2E
	v_mfma_f32_16x16x32_fp8_fp8 v[72:75], a[48:49], v[144:145], v[72:75]// 000000005428: D3F30048 0D232130
	buffer_load_dwordx4 a[16:19], v33, s[24:27], 0 offen       // 000000005430: E05C1000 80861021
	v_mfma_f32_16x16x32_fp8_fp8 v[72:75], a[50:51], v[146:147], v[72:75]// 000000005438: D3F30048 0D232532
	v_mfma_f32_16x16x32_fp8_fp8 v[72:75], a[52:53], v[148:149], v[72:75]// 000000005440: D3F30048 0D232934
	ds_read_b128 v[192:195], v2 offset:9344                    // 000000005448: D9FE2480 C0000002
	v_mfma_f32_16x16x32_fp8_fp8 v[72:75], a[54:55], v[150:151], v[72:75]// 000000005450: D3F30048 0D232D36
	v_mfma_f32_16x16x32_fp8_fp8 v[72:75], a[56:57], v[152:153], v[72:75]// 000000005458: D3F30048 0D233138
	buffer_load_dwordx4 a[20:23], v33, s[24:27], 0 offen offset:1024// 000000005460: E05C1400 80861421
	v_mfma_f32_16x16x32_fp8_fp8 v[72:75], a[58:59], v[154:155], v[72:75]// 000000005468: D3F30048 0D23353A
	v_mfma_f32_16x16x32_fp8_fp8 v[72:75], a[60:61], v[156:157], v[72:75]// 000000005470: D3F30048 0D23393C
	ds_read_b128 v[196:199], v2 offset:9408                    // 000000005478: D9FE24C0 C4000002
	v_mfma_f32_16x16x32_fp8_fp8 v[72:75], a[62:63], v[158:159], v[72:75]// 000000005480: D3F30048 0D233D3E
	v_mfma_f32_16x16x32_fp8_fp8 v[76:79], a[48:49], v[160:161], v[76:79]// 000000005488: D3F3004C 0D334130
	buffer_load_dwordx4 a[24:27], v33, s[24:27], 0 offen offset:2048// 000000005490: E05C1800 80861821
	v_mfma_f32_16x16x32_fp8_fp8 v[76:79], a[50:51], v[162:163], v[76:79]// 000000005498: D3F3004C 0D334532
	v_mfma_f32_16x16x32_fp8_fp8 v[76:79], a[52:53], v[164:165], v[76:79]// 0000000054A0: D3F3004C 0D334934
	ds_read_b128 v[200:203], v2 offset:9472                    // 0000000054A8: D9FE2500 C8000002
	v_mfma_f32_16x16x32_fp8_fp8 v[76:79], a[54:55], v[166:167], v[76:79]// 0000000054B0: D3F3004C 0D334D36
	v_mfma_f32_16x16x32_fp8_fp8 v[76:79], a[56:57], v[168:169], v[76:79]// 0000000054B8: D3F3004C 0D335138
	buffer_load_dwordx4 a[28:31], v33, s[24:27], 0 offen offset:3072// 0000000054C0: E05C1C00 80861C21
	v_mfma_f32_16x16x32_fp8_fp8 v[76:79], a[58:59], v[170:171], v[76:79]// 0000000054C8: D3F3004C 0D33553A
	v_mfma_f32_16x16x32_fp8_fp8 v[76:79], a[60:61], v[172:173], v[76:79]// 0000000054D0: D3F3004C 0D33593C
	ds_read_b128 v[204:207], v2 offset:9536                    // 0000000054D8: D9FE2540 CC000002
	v_mfma_f32_16x16x32_fp8_fp8 v[76:79], a[62:63], v[174:175], v[76:79]// 0000000054E0: D3F3004C 0D335D3E
	s_add_u32 s60, 0x200, s80                                  // 0000000054E8: 803C50FF 00000200
	s_cmp_lt_u32 s60, s81                                      // 0000000054F0: BF0A513C
	s_cselect_b32 s57, s57, 0                                  // 0000000054F4: 85398039
	s_add_u32 s60, 0x200, s80                                  // 0000000054F8: 803C50FF 00000200
	s_cmp_lt_u32 s60, s81                                      // 000000005500: BF0A513C
	s_cselect_b32 s58, s58, 0                                  // 000000005504: 853A803A
	s_add_u32 s20, s57, s20                                    // 000000005508: 80141439
	s_addc_u32 s21, 0, s21                                     // 00000000550C: 82151580
	s_add_u32 s24, s58, s24                                    // 000000005510: 8018183A
	s_addc_u32 s25, 0, s25                                     // 000000005514: 82191980
	s_add_u32 s92, s90, s92                                    // 000000005518: 805C5C5A
	s_addc_u32 s93, 0, s93                                     // 00000000551C: 825D5D80
	s_addk_i32 s80, 0x100                                      // 000000005520: B7500100
	s_cmp_lt_i32 s80, s81                                      // 000000005524: BF045150
	s_cbranch_scc0 label_0AB0                                  // 000000005528: BF8400E5
	s_waitcnt vmcnt(0) lgkmcnt(0)                              // 00000000552C: BF8C0070
	s_barrier                                                  // 000000005530: BF8A0000
	v_mfma_f32_16x16x32_fp8_fp8 v[128:131], a[0:1], v[176:177], v[128:131]// 000000005534: D3F30080 0E036100
	buffer_load_dwordx4 a[32:35], v32, s[92:95], 0 offen       // 00000000553C: E05C1000 80972020
	v_mfma_f32_16x16x32_fp8_fp8 v[128:131], a[2:3], v[178:179], v[128:131]// 000000005544: D3F30080 0E036502
	v_mfma_f32_16x16x32_fp8_fp8 v[128:131], a[4:5], v[180:181], v[128:131]// 00000000554C: D3F30080 0E036904
	buffer_load_dword v24, s[20:23], 0 offen lds               // 000000005554: E0511000 80050018
	s_add_u32 m0, 0x100, s50                                   // 00000000555C: 807C32FF 00000100
	v_mfma_f32_16x16x32_fp8_fp8 v[128:131], a[6:7], v[182:183], v[128:131]// 000000005564: D3F30080 0E036D06
	v_mfma_f32_16x16x32_fp8_fp8 v[128:131], a[8:9], v[184:185], v[128:131]// 00000000556C: D3F30080 0E037108
	buffer_load_dwordx4 a[36:39], v32, s[92:95], 0 offen offset:1024// 000000005574: E05C1400 80972420
	v_mfma_f32_16x16x32_fp8_fp8 v[128:131], a[10:11], v[186:187], v[128:131]// 00000000557C: D3F30080 0E03750A
	v_mfma_f32_16x16x32_fp8_fp8 v[128:131], a[12:13], v[188:189], v[128:131]// 000000005584: D3F30080 0E03790C
	buffer_load_dword v25, s[20:23], 0 offen lds               // 00000000558C: E0511000 80050019
	s_add_u32 m0, 0x200, s50                                   // 000000005594: 807C32FF 00000200
	v_mfma_f32_16x16x32_fp8_fp8 v[128:131], a[14:15], v[190:191], v[128:131]// 00000000559C: D3F30080 0E037D0E
	v_mfma_f32_16x16x32_fp8_fp8 v[132:135], a[0:1], v[192:193], v[132:135]// 0000000055A4: D3F30084 0E138100
	buffer_load_dwordx4 a[40:43], v32, s[92:95], 0 offen offset:2048// 0000000055AC: E05C1800 80972820
	v_mfma_f32_16x16x32_fp8_fp8 v[132:135], a[2:3], v[194:195], v[132:135]// 0000000055B4: D3F30084 0E138502
	v_mfma_f32_16x16x32_fp8_fp8 v[132:135], a[4:5], v[196:197], v[132:135]// 0000000055BC: D3F30084 0E138904
	buffer_load_dword v26, s[20:23], 0 offen lds               // 0000000055C4: E0511000 8005001A
	s_add_u32 m0, 0x300, s50                                   // 0000000055CC: 807C32FF 00000300
	v_mfma_f32_16x16x32_fp8_fp8 v[132:135], a[6:7], v[198:199], v[132:135]// 0000000055D4: D3F30084 0E138D06
	v_mfma_f32_16x16x32_fp8_fp8 v[132:135], a[8:9], v[200:201], v[132:135]// 0000000055DC: D3F30084 0E139108
	buffer_load_dwordx4 a[44:47], v32, s[92:95], 0 offen offset:3072// 0000000055E4: E05C1C00 80972C20
	v_mfma_f32_16x16x32_fp8_fp8 v[132:135], a[10:11], v[202:203], v[132:135]// 0000000055EC: D3F30084 0E13950A
	v_mfma_f32_16x16x32_fp8_fp8 v[132:135], a[12:13], v[204:205], v[132:135]// 0000000055F4: D3F30084 0E13990C
	buffer_load_dword v27, s[20:23], 0 offen lds               // 0000000055FC: E0511000 8005001B
	s_add_u32 m0, 0x400, s50                                   // 000000005604: 807C32FF 00000400
	v_mfma_f32_16x16x32_fp8_fp8 v[132:135], a[14:15], v[206:207], v[132:135]// 00000000560C: D3F30084 0E139D0E
	v_mfma_f32_16x16x32_fp8_fp8 v[136:139], a[16:17], v[176:177], v[136:139]// 000000005614: D3F30088 0E236110
	buffer_load_dwordx4 a[48:51], v33, s[92:95], 0 offen       // 00000000561C: E05C1000 80973021
	v_mfma_f32_16x16x32_fp8_fp8 v[136:139], a[18:19], v[178:179], v[136:139]// 000000005624: D3F30088 0E236512
	v_mfma_f32_16x16x32_fp8_fp8 v[136:139], a[20:21], v[180:181], v[136:139]// 00000000562C: D3F30088 0E236914
	buffer_load_dword v28, s[20:23], 0 offen lds               // 000000005634: E0511000 8005001C
	s_add_u32 m0, 0x500, s50                                   // 00000000563C: 807C32FF 00000500
	v_mfma_f32_16x16x32_fp8_fp8 v[136:139], a[22:23], v[182:183], v[136:139]// 000000005644: D3F30088 0E236D16
	v_mfma_f32_16x16x32_fp8_fp8 v[136:139], a[24:25], v[184:185], v[136:139]// 00000000564C: D3F30088 0E237118
	buffer_load_dwordx4 a[52:55], v33, s[92:95], 0 offen offset:1024// 000000005654: E05C1400 80973421
	v_mfma_f32_16x16x32_fp8_fp8 v[136:139], a[26:27], v[186:187], v[136:139]// 00000000565C: D3F30088 0E23751A
	v_mfma_f32_16x16x32_fp8_fp8 v[136:139], a[28:29], v[188:189], v[136:139]// 000000005664: D3F30088 0E23791C
	buffer_load_dword v29, s[20:23], 0 offen lds               // 00000000566C: E0511000 8005001D
	s_add_u32 m0, 0x600, s50                                   // 000000005674: 807C32FF 00000600
	v_mfma_f32_16x16x32_fp8_fp8 v[136:139], a[30:31], v[190:191], v[136:139]// 00000000567C: D3F30088 0E237D1E
	v_mfma_f32_16x16x32_fp8_fp8 v[140:143], a[16:17], v[192:193], v[140:143]// 000000005684: D3F3008C 0E338110
	buffer_load_dwordx4 a[56:59], v33, s[92:95], 0 offen offset:2048// 00000000568C: E05C1800 80973821
	v_mfma_f32_16x16x32_fp8_fp8 v[140:143], a[18:19], v[194:195], v[140:143]// 000000005694: D3F3008C 0E338512
	v_mfma_f32_16x16x32_fp8_fp8 v[140:143], a[20:21], v[196:197], v[140:143]// 00000000569C: D3F3008C 0E338914
	buffer_load_dword v30, s[20:23], 0 offen lds               // 0000000056A4: E0511000 8005001E
	s_add_u32 m0, 0x700, s50                                   // 0000000056AC: 807C32FF 00000700
	v_mfma_f32_16x16x32_fp8_fp8 v[140:143], a[22:23], v[198:199], v[140:143]// 0000000056B4: D3F3008C 0E338D16
	v_mfma_f32_16x16x32_fp8_fp8 v[140:143], a[24:25], v[200:201], v[140:143]// 0000000056BC: D3F3008C 0E339118
	buffer_load_dwordx4 a[60:63], v33, s[92:95], 0 offen offset:3072// 0000000056C4: E05C1C00 80973C21
	v_mfma_f32_16x16x32_fp8_fp8 v[140:143], a[26:27], v[202:203], v[140:143]// 0000000056CC: D3F3008C 0E33951A
	v_mfma_f32_16x16x32_fp8_fp8 v[140:143], a[28:29], v[204:205], v[140:143]// 0000000056D4: D3F3008C 0E33991C
	buffer_load_dword v31, s[20:23], 0 offen lds               // 0000000056DC: E0511000 8005001F
	s_add_u32 m0, 0, s51                                       // 0000000056E4: 807C3380
	v_mfma_f32_16x16x32_fp8_fp8 v[140:143], a[30:31], v[206:207], v[140:143]// 0000000056E8: D3F3008C 0E339D1E
	s_waitcnt vmcnt(0)                                         // 0000000056F0: BF8C0F70
	s_barrier                                                  // 0000000056F4: BF8A0000
	v_mfma_f32_16x16x32_fp8_fp8 v[64:67], a[32:33], v[176:177], v[64:67]// 0000000056F8: D3F30040 0D036120
	buffer_load_dwordx4 a[0:3], v32, s[24:27], 0 offen         // 000000005700: E05C1000 80860020
	v_mfma_f32_16x16x32_fp8_fp8 v[64:67], a[34:35], v[178:179], v[64:67]// 000000005708: D3F30040 0D036522
	v_mfma_f32_16x16x32_fp8_fp8 v[64:67], a[36:37], v[180:181], v[64:67]// 000000005710: D3F30040 0D036924
	ds_read_b128 v[144:147], v2                                // 000000005718: D9FE0000 90000002
	v_mfma_f32_16x16x32_fp8_fp8 v[64:67], a[38:39], v[182:183], v[64:67]// 000000005720: D3F30040 0D036D26
	v_mfma_f32_16x16x32_fp8_fp8 v[64:67], a[40:41], v[184:185], v[64:67]// 000000005728: D3F30040 0D037128
	buffer_load_dwordx4 a[4:7], v32, s[24:27], 0 offen offset:1024// 000000005730: E05C1400 80860420
	v_mfma_f32_16x16x32_fp8_fp8 v[64:67], a[42:43], v[186:187], v[64:67]// 000000005738: D3F30040 0D03752A
	v_mfma_f32_16x16x32_fp8_fp8 v[64:67], a[44:45], v[188:189], v[64:67]// 000000005740: D3F30040 0D03792C
	ds_read_b128 v[148:151], v2 offset:64                      // 000000005748: D9FE0040 94000002
	v_mfma_f32_16x16x32_fp8_fp8 v[64:67], a[46:47], v[190:191], v[64:67]// 000000005750: D3F30040 0D037D2E
	v_mfma_f32_16x16x32_fp8_fp8 v[68:71], a[32:33], v[192:193], v[68:71]// 000000005758: D3F30044 0D138120
	buffer_load_dwordx4 a[8:11], v32, s[24:27], 0 offen offset:2048// 000000005760: E05C1800 80860820
	v_mfma_f32_16x16x32_fp8_fp8 v[68:71], a[34:35], v[194:195], v[68:71]// 000000005768: D3F30044 0D138522
	v_mfma_f32_16x16x32_fp8_fp8 v[68:71], a[36:37], v[196:197], v[68:71]// 000000005770: D3F30044 0D138924
	ds_read_b128 v[152:155], v2 offset:128                     // 000000005778: D9FE0080 98000002
	v_mfma_f32_16x16x32_fp8_fp8 v[68:71], a[38:39], v[198:199], v[68:71]// 000000005780: D3F30044 0D138D26
	v_mfma_f32_16x16x32_fp8_fp8 v[68:71], a[40:41], v[200:201], v[68:71]// 000000005788: D3F30044 0D139128
	buffer_load_dwordx4 a[12:15], v32, s[24:27], 0 offen offset:3072// 000000005790: E05C1C00 80860C20
	v_mfma_f32_16x16x32_fp8_fp8 v[68:71], a[42:43], v[202:203], v[68:71]// 000000005798: D3F30044 0D13952A
	v_mfma_f32_16x16x32_fp8_fp8 v[68:71], a[44:45], v[204:205], v[68:71]// 0000000057A0: D3F30044 0D13992C
	ds_read_b128 v[156:159], v2 offset:192                     // 0000000057A8: D9FE00C0 9C000002
	v_mfma_f32_16x16x32_fp8_fp8 v[68:71], a[46:47], v[206:207], v[68:71]// 0000000057B0: D3F30044 0D139D2E
	v_mfma_f32_16x16x32_fp8_fp8 v[72:75], a[48:49], v[176:177], v[72:75]// 0000000057B8: D3F30048 0D236130
	buffer_load_dwordx4 a[16:19], v33, s[24:27], 0 offen       // 0000000057C0: E05C1000 80861021
	v_mfma_f32_16x16x32_fp8_fp8 v[72:75], a[50:51], v[178:179], v[72:75]// 0000000057C8: D3F30048 0D236532
	v_mfma_f32_16x16x32_fp8_fp8 v[72:75], a[52:53], v[180:181], v[72:75]// 0000000057D0: D3F30048 0D236934
	ds_read_b128 v[160:163], v2 offset:1024                    // 0000000057D8: D9FE0400 A0000002
	v_mfma_f32_16x16x32_fp8_fp8 v[72:75], a[54:55], v[182:183], v[72:75]// 0000000057E0: D3F30048 0D236D36
	v_mfma_f32_16x16x32_fp8_fp8 v[72:75], a[56:57], v[184:185], v[72:75]// 0000000057E8: D3F30048 0D237138
	buffer_load_dwordx4 a[20:23], v33, s[24:27], 0 offen offset:1024// 0000000057F0: E05C1400 80861421
	v_mfma_f32_16x16x32_fp8_fp8 v[72:75], a[58:59], v[186:187], v[72:75]// 0000000057F8: D3F30048 0D23753A
	v_mfma_f32_16x16x32_fp8_fp8 v[72:75], a[60:61], v[188:189], v[72:75]// 000000005800: D3F30048 0D23793C
	ds_read_b128 v[164:167], v2 offset:1088                    // 000000005808: D9FE0440 A4000002
	v_mfma_f32_16x16x32_fp8_fp8 v[72:75], a[62:63], v[190:191], v[72:75]// 000000005810: D3F30048 0D237D3E
	v_mfma_f32_16x16x32_fp8_fp8 v[76:79], a[48:49], v[192:193], v[76:79]// 000000005818: D3F3004C 0D338130
	buffer_load_dwordx4 a[24:27], v33, s[24:27], 0 offen offset:2048// 000000005820: E05C1800 80861821
	v_mfma_f32_16x16x32_fp8_fp8 v[76:79], a[50:51], v[194:195], v[76:79]// 000000005828: D3F3004C 0D338532
	v_mfma_f32_16x16x32_fp8_fp8 v[76:79], a[52:53], v[196:197], v[76:79]// 000000005830: D3F3004C 0D338934
	ds_read_b128 v[168:171], v2 offset:1152                    // 000000005838: D9FE0480 A8000002
	v_mfma_f32_16x16x32_fp8_fp8 v[76:79], a[54:55], v[198:199], v[76:79]// 000000005840: D3F3004C 0D338D36
	v_mfma_f32_16x16x32_fp8_fp8 v[76:79], a[56:57], v[200:201], v[76:79]// 000000005848: D3F3004C 0D339138
	buffer_load_dwordx4 a[28:31], v33, s[24:27], 0 offen offset:3072// 000000005850: E05C1C00 80861C21
	v_mfma_f32_16x16x32_fp8_fp8 v[76:79], a[58:59], v[202:203], v[76:79]// 000000005858: D3F3004C 0D33953A
	v_mfma_f32_16x16x32_fp8_fp8 v[76:79], a[60:61], v[204:205], v[76:79]// 000000005860: D3F3004C 0D33993C
	ds_read_b128 v[172:175], v2 offset:1216                    // 000000005868: D9FE04C0 AC000002
	v_mfma_f32_16x16x32_fp8_fp8 v[76:79], a[62:63], v[206:207], v[76:79]// 000000005870: D3F3004C 0D339D3E
	s_add_u32 s60, 0x200, s80                                  // 000000005878: 803C50FF 00000200
	s_cmp_lt_u32 s60, s81                                      // 000000005880: BF0A513C
	s_cselect_b32 s57, s57, 0                                  // 000000005884: 85398039
	s_add_u32 s60, 0x200, s80                                  // 000000005888: 803C50FF 00000200
	s_cmp_lt_u32 s60, s81                                      // 000000005890: BF0A513C
	s_cselect_b32 s58, s58, 0                                  // 000000005894: 853A803A
	s_add_u32 s20, s57, s20                                    // 000000005898: 80141439
	s_addc_u32 s21, 0, s21                                     // 00000000589C: 82151580
	s_add_u32 s24, s58, s24                                    // 0000000058A0: 8018183A
	s_addc_u32 s25, 0, s25                                     // 0000000058A4: 82191980
	s_add_u32 s92, s90, s92                                    // 0000000058A8: 805C5C5A
	s_addc_u32 s93, 0, s93                                     // 0000000058AC: 825D5D80
	s_addk_i32 s80, 0x100                                      // 0000000058B0: B7500100
	s_cmp_lt_i32 s80, s81                                      // 0000000058B4: BF045150
	s_cbranch_scc0 label_0AB0                                  // 0000000058B8: BF840001
	s_branch label_08E7                                        // 0000000058BC: BF82FE37

00000000000058c0 <label_0AB0>:
	s_mov_b32 s36, -1                                          // 0000000058C0: BEA400C1
	s_mov_b32 s37, -1                                          // 0000000058C4: BEA500C1
	s_mov_b64 s[60:61], 0                                      // 0000000058C8: BEBC0180
	s_cmp_lt_u32 s82, s66                                      // 0000000058CC: BF0A4252
	s_cselect_b64 s[20:21], s[36:37], s[60:61]                 // 0000000058D0: 85943C24
	s_cmp_lt_u32 s83, s66                                      // 0000000058D4: BF0A4253
	s_cselect_b64 s[22:23], s[36:37], s[60:61]                 // 0000000058D8: 85963C24
	s_cmp_lt_u32 s84, s66                                      // 0000000058DC: BF0A4254
	s_cselect_b64 s[24:25], s[36:37], s[60:61]                 // 0000000058E0: 85983C24
	s_cmp_lt_u32 s85, s66                                      // 0000000058E4: BF0A4255
	s_cselect_b64 s[26:27], s[36:37], s[60:61]                 // 0000000058E8: 859A3C24
	s_cmp_lt_u32 s86, s66                                      // 0000000058EC: BF0A4256
	s_cselect_b64 s[28:29], s[36:37], s[60:61]                 // 0000000058F0: 859C3C24
	s_cmp_lt_u32 s87, s66                                      // 0000000058F4: BF0A4257
	s_cselect_b64 s[30:31], s[36:37], s[60:61]                 // 0000000058F8: 859E3C24
	s_cmp_lt_u32 s88, s66                                      // 0000000058FC: BF0A4258
	s_cselect_b64 s[32:33], s[36:37], s[60:61]                 // 000000005900: 85A03C24
	s_cmp_lt_u32 s89, s66                                      // 000000005904: BF0A4259
	s_cselect_b64 s[34:35], s[36:37], s[60:61]                 // 000000005908: 85A23C24
	v_mul_f32_e32 v128, v13, v128                              // 00000000590C: 0B01010D
	v_mul_f32_e32 v128, v17, v128                              // 000000005910: 0B010111
	v_mul_f32_e32 v129, v13, v129                              // 000000005914: 0B03030D
	v_mul_f32_e32 v129, v17, v129                              // 000000005918: 0B030311
	v_mul_f32_e32 v130, v13, v130                              // 00000000591C: 0B05050D
	v_mul_f32_e32 v130, v17, v130                              // 000000005920: 0B050511
	v_mul_f32_e32 v131, v13, v131                              // 000000005924: 0B07070D
	v_mul_f32_e32 v131, v17, v131                              // 000000005928: 0B070711
	v_mul_f32_dpp v128, v15, v128 row_newbcast:0 row_mask:0xf bank_mask:0xf// 00000000592C: 0B0100FA FF01500F
	v_mul_f32_dpp v129, v15, v129 row_newbcast:1 row_mask:0xf bank_mask:0xf// 000000005934: 0B0302FA FF01510F
	v_mul_f32_dpp v130, v15, v130 row_newbcast:2 row_mask:0xf bank_mask:0xf// 00000000593C: 0B0504FA FF01520F
	v_mul_f32_dpp v131, v15, v131 row_newbcast:3 row_mask:0xf bank_mask:0xf// 000000005944: 0B0706FA FF01530F
	v_mul_f32_e32 v132, v14, v132                              // 00000000594C: 0B09090E
	v_mul_f32_e32 v132, v18, v132                              // 000000005950: 0B090912
	v_mul_f32_e32 v133, v14, v133                              // 000000005954: 0B0B0B0E
	v_mul_f32_e32 v133, v18, v133                              // 000000005958: 0B0B0B12
	v_mul_f32_e32 v134, v14, v134                              // 00000000595C: 0B0D0D0E
	v_mul_f32_e32 v134, v18, v134                              // 000000005960: 0B0D0D12
	v_mul_f32_e32 v135, v14, v135                              // 000000005964: 0B0F0F0E
	v_mul_f32_e32 v135, v18, v135                              // 000000005968: 0B0F0F12
	v_mul_f32_dpp v132, v15, v132 row_newbcast:0 row_mask:0xf bank_mask:0xf// 00000000596C: 0B0908FA FF01500F
	v_mul_f32_dpp v133, v15, v133 row_newbcast:1 row_mask:0xf bank_mask:0xf// 000000005974: 0B0B0AFA FF01510F
	v_mul_f32_dpp v134, v15, v134 row_newbcast:2 row_mask:0xf bank_mask:0xf// 00000000597C: 0B0D0CFA FF01520F
	v_mul_f32_dpp v135, v15, v135 row_newbcast:3 row_mask:0xf bank_mask:0xf// 000000005984: 0B0F0EFA FF01530F
	v_mul_f32_e32 v136, v13, v136                              // 00000000598C: 0B11110D
	v_mul_f32_e32 v136, v17, v136                              // 000000005990: 0B111111
	v_mul_f32_e32 v137, v13, v137                              // 000000005994: 0B13130D
	v_mul_f32_e32 v137, v17, v137                              // 000000005998: 0B131311
	v_mul_f32_e32 v138, v13, v138                              // 00000000599C: 0B15150D
	v_mul_f32_e32 v138, v17, v138                              // 0000000059A0: 0B151511
	v_mul_f32_e32 v139, v13, v139                              // 0000000059A4: 0B17170D
	v_mul_f32_e32 v139, v17, v139                              // 0000000059A8: 0B171711
	v_mul_f32_dpp v136, v15, v136 row_newbcast:4 row_mask:0xf bank_mask:0xf// 0000000059AC: 0B1110FA FF01540F
	v_mul_f32_dpp v137, v15, v137 row_newbcast:5 row_mask:0xf bank_mask:0xf// 0000000059B4: 0B1312FA FF01550F
	v_mul_f32_dpp v138, v15, v138 row_newbcast:6 row_mask:0xf bank_mask:0xf// 0000000059BC: 0B1514FA FF01560F
	v_mul_f32_dpp v139, v15, v139 row_newbcast:7 row_mask:0xf bank_mask:0xf// 0000000059C4: 0B1716FA FF01570F
	v_mul_f32_e32 v140, v14, v140                              // 0000000059CC: 0B19190E
	v_mul_f32_e32 v140, v18, v140                              // 0000000059D0: 0B191912
	v_mul_f32_e32 v141, v14, v141                              // 0000000059D4: 0B1B1B0E
	v_mul_f32_e32 v141, v18, v141                              // 0000000059D8: 0B1B1B12
	v_mul_f32_e32 v142, v14, v142                              // 0000000059DC: 0B1D1D0E
	v_mul_f32_e32 v142, v18, v142                              // 0000000059E0: 0B1D1D12
	v_mul_f32_e32 v143, v14, v143                              // 0000000059E4: 0B1F1F0E
	v_mul_f32_e32 v143, v18, v143                              // 0000000059E8: 0B1F1F12
	v_mul_f32_dpp v140, v15, v140 row_newbcast:4 row_mask:0xf bank_mask:0xf// 0000000059EC: 0B1918FA FF01540F
	v_mul_f32_dpp v141, v15, v141 row_newbcast:5 row_mask:0xf bank_mask:0xf// 0000000059F4: 0B1B1AFA FF01550F
	v_mul_f32_dpp v142, v15, v142 row_newbcast:6 row_mask:0xf bank_mask:0xf// 0000000059FC: 0B1D1CFA FF01560F
	v_mul_f32_dpp v143, v15, v143 row_newbcast:7 row_mask:0xf bank_mask:0xf// 000000005A04: 0B1F1EFA FF01570F
	v_mul_f32_e32 v64, v13, v64                                // 000000005A0C: 0A80810D
	v_mul_f32_e32 v64, v17, v64                                // 000000005A10: 0A808111
	v_mul_f32_e32 v65, v13, v65                                // 000000005A14: 0A82830D
	v_mul_f32_e32 v65, v17, v65                                // 000000005A18: 0A828311
	v_mul_f32_e32 v66, v13, v66                                // 000000005A1C: 0A84850D
	v_mul_f32_e32 v66, v17, v66                                // 000000005A20: 0A848511
	v_mul_f32_e32 v67, v13, v67                                // 000000005A24: 0A86870D
	v_mul_f32_e32 v67, v17, v67                                // 000000005A28: 0A868711
	v_mul_f32_dpp v64, v42, v64 row_newbcast:0 row_mask:0xf bank_mask:0xf// 000000005A2C: 0A8080FA FF01502A
	v_mul_f32_dpp v65, v42, v65 row_newbcast:1 row_mask:0xf bank_mask:0xf// 000000005A34: 0A8282FA FF01512A
	v_mul_f32_dpp v66, v42, v66 row_newbcast:2 row_mask:0xf bank_mask:0xf// 000000005A3C: 0A8484FA FF01522A
	v_mul_f32_dpp v67, v42, v67 row_newbcast:3 row_mask:0xf bank_mask:0xf// 000000005A44: 0A8686FA FF01532A
	v_mul_f32_e32 v68, v14, v68                                // 000000005A4C: 0A88890E
	v_mul_f32_e32 v68, v18, v68                                // 000000005A50: 0A888912
	v_mul_f32_e32 v69, v14, v69                                // 000000005A54: 0A8A8B0E
	v_mul_f32_e32 v69, v18, v69                                // 000000005A58: 0A8A8B12
	v_mul_f32_e32 v70, v14, v70                                // 000000005A5C: 0A8C8D0E
	v_mul_f32_e32 v70, v18, v70                                // 000000005A60: 0A8C8D12
	v_mul_f32_e32 v71, v14, v71                                // 000000005A64: 0A8E8F0E
	v_mul_f32_e32 v71, v18, v71                                // 000000005A68: 0A8E8F12
	v_mul_f32_dpp v68, v42, v68 row_newbcast:0 row_mask:0xf bank_mask:0xf// 000000005A6C: 0A8888FA FF01502A
	v_mul_f32_dpp v69, v42, v69 row_newbcast:1 row_mask:0xf bank_mask:0xf// 000000005A74: 0A8A8AFA FF01512A
	v_mul_f32_dpp v70, v42, v70 row_newbcast:2 row_mask:0xf bank_mask:0xf// 000000005A7C: 0A8C8CFA FF01522A
	v_mul_f32_dpp v71, v42, v71 row_newbcast:3 row_mask:0xf bank_mask:0xf// 000000005A84: 0A8E8EFA FF01532A
	v_mul_f32_e32 v72, v13, v72                                // 000000005A8C: 0A90910D
	v_mul_f32_e32 v72, v17, v72                                // 000000005A90: 0A909111
	v_mul_f32_e32 v73, v13, v73                                // 000000005A94: 0A92930D
	v_mul_f32_e32 v73, v17, v73                                // 000000005A98: 0A929311
	v_mul_f32_e32 v74, v13, v74                                // 000000005A9C: 0A94950D
	v_mul_f32_e32 v74, v17, v74                                // 000000005AA0: 0A949511
	v_mul_f32_e32 v75, v13, v75                                // 000000005AA4: 0A96970D
	v_mul_f32_e32 v75, v17, v75                                // 000000005AA8: 0A969711
	v_mul_f32_dpp v72, v42, v72 row_newbcast:4 row_mask:0xf bank_mask:0xf// 000000005AAC: 0A9090FA FF01542A
	v_mul_f32_dpp v73, v42, v73 row_newbcast:5 row_mask:0xf bank_mask:0xf// 000000005AB4: 0A9292FA FF01552A
	v_mul_f32_dpp v74, v42, v74 row_newbcast:6 row_mask:0xf bank_mask:0xf// 000000005ABC: 0A9494FA FF01562A
	v_mul_f32_dpp v75, v42, v75 row_newbcast:7 row_mask:0xf bank_mask:0xf// 000000005AC4: 0A9696FA FF01572A
	v_mul_f32_e32 v76, v14, v76                                // 000000005ACC: 0A98990E
	v_mul_f32_e32 v76, v18, v76                                // 000000005AD0: 0A989912
	v_mul_f32_e32 v77, v14, v77                                // 000000005AD4: 0A9A9B0E
	v_mul_f32_e32 v77, v18, v77                                // 000000005AD8: 0A9A9B12
	v_mul_f32_e32 v78, v14, v78                                // 000000005ADC: 0A9C9D0E
	v_mul_f32_e32 v78, v18, v78                                // 000000005AE0: 0A9C9D12
	v_mul_f32_e32 v79, v14, v79                                // 000000005AE4: 0A9E9F0E
	v_mul_f32_e32 v79, v18, v79                                // 000000005AE8: 0A9E9F12
	v_mul_f32_dpp v76, v42, v76 row_newbcast:4 row_mask:0xf bank_mask:0xf// 000000005AEC: 0A9898FA FF01542A
	v_mul_f32_dpp v77, v42, v77 row_newbcast:5 row_mask:0xf bank_mask:0xf// 000000005AF4: 0A9A9AFA FF01552A
	v_mul_f32_dpp v78, v42, v78 row_newbcast:6 row_mask:0xf bank_mask:0xf// 000000005AFC: 0A9C9CFA FF01562A
	v_mul_f32_dpp v79, v42, v79 row_newbcast:7 row_mask:0xf bank_mask:0xf// 000000005B04: 0A9E9EFA FF01572A
	s_waitcnt vmcnt(4)                                         // 000000005B0C: BF8C0F74
	buffer_load_dwordx4 a[0:3], v34, s[12:15], 0 offen         // 000000005B10: E05C1000 80830022
	v_mul_f32_e64 v44, -v128, s6                               // 000000005B18: D105002C 20000D80
	v_mul_f32_e64 v45, -v129, s6                               // 000000005B20: D105002D 20000D81
	v_mul_f32_e64 v46, -v130, s6                               // 000000005B28: D105002E 20000D82
	v_mul_f32_e64 v47, -v131, s6                               // 000000005B30: D105002F 20000D83
	v_exp_f32_e32 v44, v44                                     // 000000005B38: 7E58412C
	v_exp_f32_e32 v45, v45                                     // 000000005B3C: 7E5A412D
	v_exp_f32_e32 v46, v46                                     // 000000005B40: 7E5C412E
	v_exp_f32_e32 v47, v47                                     // 000000005B44: 7E5E412F
	buffer_load_dwordx4 a[4:7], v35, s[12:15], 0 offen         // 000000005B48: E05C1000 80830423
	v_add_f32_e64 v44, v44, 1.0                                // 000000005B50: D101002C 0001E52C
	v_add_f32_e64 v45, v45, 1.0                                // 000000005B58: D101002D 0001E52D
	v_add_f32_e64 v46, v46, 1.0                                // 000000005B60: D101002E 0001E52E
	v_add_f32_e64 v47, v47, 1.0                                // 000000005B68: D101002F 0001E52F
	v_rcp_f32_e32 v44, v44                                     // 000000005B70: 7E58452C
	v_rcp_f32_e32 v45, v45                                     // 000000005B74: 7E5A452D
	v_rcp_f32_e32 v46, v46                                     // 000000005B78: 7E5C452E
	v_rcp_f32_e32 v47, v47                                     // 000000005B7C: 7E5E452F
	v_mul_f32_e32 v128, v128, v44                              // 000000005B80: 0B005980
	v_mul_f32_e32 v129, v129, v45                              // 000000005B84: 0B025B81
	v_mul_f32_e32 v130, v130, v46                              // 000000005B88: 0B045D82
	v_mul_f32_e32 v131, v131, v47                              // 000000005B8C: 0B065F83
	v_mul_f32_e32 v128, v128, v64                              // 000000005B90: 0B008180
	v_mul_f32_e32 v129, v129, v65                              // 000000005B94: 0B028381
	v_mul_f32_e32 v130, v130, v66                              // 000000005B98: 0B048582
	v_mul_f32_e32 v131, v131, v67                              // 000000005B9C: 0B068783
	buffer_load_dwordx4 a[8:11], v36, s[12:15], 0 offen        // 000000005BA0: E05C1000 80830824
	v_mul_f32_e64 v44, -v132, s6                               // 000000005BA8: D105002C 20000D84
	v_mul_f32_e64 v45, -v133, s6                               // 000000005BB0: D105002D 20000D85
	v_mul_f32_e64 v46, -v134, s6                               // 000000005BB8: D105002E 20000D86
	v_mul_f32_e64 v47, -v135, s6                               // 000000005BC0: D105002F 20000D87
	v_exp_f32_e32 v44, v44                                     // 000000005BC8: 7E58412C
	v_exp_f32_e32 v45, v45                                     // 000000005BCC: 7E5A412D
	v_exp_f32_e32 v46, v46                                     // 000000005BD0: 7E5C412E
	v_exp_f32_e32 v47, v47                                     // 000000005BD4: 7E5E412F
	buffer_load_dwordx4 a[12:15], v37, s[12:15], 0 offen       // 000000005BD8: E05C1000 80830C25
	s_add_u32 s12, s78, s12                                    // 000000005BE0: 800C0C4E
	s_addc_u32 s13, 0, s13                                     // 000000005BE4: 820D0D80
	v_add_f32_e64 v44, v44, 1.0                                // 000000005BE8: D101002C 0001E52C
	v_add_f32_e64 v45, v45, 1.0                                // 000000005BF0: D101002D 0001E52D
	v_add_f32_e64 v46, v46, 1.0                                // 000000005BF8: D101002E 0001E52E
	v_add_f32_e64 v47, v47, 1.0                                // 000000005C00: D101002F 0001E52F
	v_rcp_f32_e32 v44, v44                                     // 000000005C08: 7E58452C
	v_rcp_f32_e32 v45, v45                                     // 000000005C0C: 7E5A452D
	v_rcp_f32_e32 v46, v46                                     // 000000005C10: 7E5C452E
	v_rcp_f32_e32 v47, v47                                     // 000000005C14: 7E5E452F
	v_mul_f32_e32 v132, v132, v44                              // 000000005C18: 0B085984
	v_mul_f32_e32 v133, v133, v45                              // 000000005C1C: 0B0A5B85
	v_mul_f32_e32 v134, v134, v46                              // 000000005C20: 0B0C5D86
	v_mul_f32_e32 v135, v135, v47                              // 000000005C24: 0B0E5F87
	v_mul_f32_e32 v132, v132, v68                              // 000000005C28: 0B088984
	v_mul_f32_e32 v133, v133, v69                              // 000000005C2C: 0B0A8B85
	v_mul_f32_e32 v134, v134, v70                              // 000000005C30: 0B0C8D86
	v_mul_f32_e32 v135, v135, v71                              // 000000005C34: 0B0E8F87
	s_waitcnt vmcnt(4)                                         // 000000005C38: BF8C0F74
	buffer_load_dwordx4 a[16:19], v34, s[12:15], 0 offen       // 000000005C3C: E05C1000 80831022
	v_mul_f32_e64 v44, -v136, s6                               // 000000005C44: D105002C 20000D88
	v_mul_f32_e64 v45, -v137, s6                               // 000000005C4C: D105002D 20000D89
	v_mul_f32_e64 v46, -v138, s6                               // 000000005C54: D105002E 20000D8A
	v_mul_f32_e64 v47, -v139, s6                               // 000000005C5C: D105002F 20000D8B
	v_exp_f32_e32 v44, v44                                     // 000000005C64: 7E58412C
	v_exp_f32_e32 v45, v45                                     // 000000005C68: 7E5A412D
	v_exp_f32_e32 v46, v46                                     // 000000005C6C: 7E5C412E
	v_exp_f32_e32 v47, v47                                     // 000000005C70: 7E5E412F
	buffer_load_dwordx4 a[20:23], v35, s[12:15], 0 offen       // 000000005C74: E05C1000 80831423
	v_add_f32_e64 v44, v44, 1.0                                // 000000005C7C: D101002C 0001E52C
	v_add_f32_e64 v45, v45, 1.0                                // 000000005C84: D101002D 0001E52D
	v_add_f32_e64 v46, v46, 1.0                                // 000000005C8C: D101002E 0001E52E
	v_add_f32_e64 v47, v47, 1.0                                // 000000005C94: D101002F 0001E52F
	v_rcp_f32_e32 v44, v44                                     // 000000005C9C: 7E58452C
	v_rcp_f32_e32 v45, v45                                     // 000000005CA0: 7E5A452D
	v_rcp_f32_e32 v46, v46                                     // 000000005CA4: 7E5C452E
	v_rcp_f32_e32 v47, v47                                     // 000000005CA8: 7E5E452F
	v_mul_f32_e32 v136, v136, v44                              // 000000005CAC: 0B105988
	v_mul_f32_e32 v137, v137, v45                              // 000000005CB0: 0B125B89
	v_mul_f32_e32 v138, v138, v46                              // 000000005CB4: 0B145D8A
	v_mul_f32_e32 v139, v139, v47                              // 000000005CB8: 0B165F8B
	v_mul_f32_e32 v136, v136, v72                              // 000000005CBC: 0B109188
	v_mul_f32_e32 v137, v137, v73                              // 000000005CC0: 0B129389
	v_mul_f32_e32 v138, v138, v74                              // 000000005CC4: 0B14958A
	v_mul_f32_e32 v139, v139, v75                              // 000000005CC8: 0B16978B
	buffer_load_dwordx4 a[24:27], v36, s[12:15], 0 offen       // 000000005CCC: E05C1000 80831824
	v_mul_f32_e64 v44, -v140, s6                               // 000000005CD4: D105002C 20000D8C
	v_mul_f32_e64 v45, -v141, s6                               // 000000005CDC: D105002D 20000D8D
	v_mul_f32_e64 v46, -v142, s6                               // 000000005CE4: D105002E 20000D8E
	v_mul_f32_e64 v47, -v143, s6                               // 000000005CEC: D105002F 20000D8F
	v_exp_f32_e32 v44, v44                                     // 000000005CF4: 7E58412C
	v_exp_f32_e32 v45, v45                                     // 000000005CF8: 7E5A412D
	v_exp_f32_e32 v46, v46                                     // 000000005CFC: 7E5C412E
	v_exp_f32_e32 v47, v47                                     // 000000005D00: 7E5E412F
	buffer_load_dwordx4 a[28:31], v37, s[12:15], 0 offen       // 000000005D04: E05C1000 80831C25
	v_add_f32_e64 v44, v44, 1.0                                // 000000005D0C: D101002C 0001E52C
	v_add_f32_e64 v45, v45, 1.0                                // 000000005D14: D101002D 0001E52D
	v_add_f32_e64 v46, v46, 1.0                                // 000000005D1C: D101002E 0001E52E
	v_add_f32_e64 v47, v47, 1.0                                // 000000005D24: D101002F 0001E52F
	v_rcp_f32_e32 v44, v44                                     // 000000005D2C: 7E58452C
	v_rcp_f32_e32 v45, v45                                     // 000000005D30: 7E5A452D
	v_rcp_f32_e32 v46, v46                                     // 000000005D34: 7E5C452E
	v_rcp_f32_e32 v47, v47                                     // 000000005D38: 7E5E452F
	v_mul_f32_e32 v140, v140, v44                              // 000000005D3C: 0B18598C
	v_mul_f32_e32 v141, v141, v45                              // 000000005D40: 0B1A5B8D
	v_mul_f32_e32 v142, v142, v46                              // 000000005D44: 0B1C5D8E
	v_mul_f32_e32 v143, v143, v47                              // 000000005D48: 0B1E5F8F
	v_mul_f32_e32 v140, v140, v76                              // 000000005D4C: 0B18998C
	v_mul_f32_e32 v141, v141, v77                              // 000000005D50: 0B1A9B8D
	v_mul_f32_e32 v142, v142, v78                              // 000000005D54: 0B1C9D8E
	v_mul_f32_e32 v143, v143, v79                              // 000000005D58: 0B1E9F8F
	v_lshlrev_b32_e32 v44, 2, v0                               // 000000005D5C: 24580082
	s_mul_i32 s60, s82, s71                                    // 000000005D60: 923C4752
	v_add_u32_e64 v80, v44, s60                                // 000000005D64: D1340050 0000792C
	v_mov_b32_e32 v81, 0                                       // 000000005D6C: 7EA20280
	s_mul_i32 s60, s83, s71                                    // 000000005D70: 923C4753
	v_add_u32_e64 v82, v44, s60                                // 000000005D74: D1340052 0000792C
	v_mov_b32_e32 v83, 0                                       // 000000005D7C: 7EA60280
	s_mul_i32 s60, s84, s71                                    // 000000005D80: 923C4754
	v_add_u32_e64 v84, v44, s60                                // 000000005D84: D1340054 0000792C
	v_mov_b32_e32 v85, 0                                       // 000000005D8C: 7EAA0280
	s_mul_i32 s60, s85, s71                                    // 000000005D90: 923C4755
	v_add_u32_e64 v86, v44, s60                                // 000000005D94: D1340056 0000792C
	v_mov_b32_e32 v87, 0                                       // 000000005D9C: 7EAE0280
	s_mul_i32 s60, s86, s71                                    // 000000005DA0: 923C4756
	v_add_u32_e64 v88, v44, s60                                // 000000005DA4: D1340058 0000792C
	v_mov_b32_e32 v89, 0                                       // 000000005DAC: 7EB20280
	s_mul_i32 s60, s87, s71                                    // 000000005DB0: 923C4757
	v_add_u32_e64 v90, v44, s60                                // 000000005DB4: D134005A 0000792C
	v_mov_b32_e32 v91, 0                                       // 000000005DBC: 7EB60280
	s_mul_i32 s60, s88, s71                                    // 000000005DC0: 923C4758
	v_add_u32_e64 v92, v44, s60                                // 000000005DC4: D134005C 0000792C
	v_mov_b32_e32 v93, 0                                       // 000000005DCC: 7EBA0280
	s_mul_i32 s60, s89, s71                                    // 000000005DD0: 923C4759
	v_add_u32_e64 v94, v44, s60                                // 000000005DD4: D134005E 0000792C
	v_mov_b32_e32 v95, 0                                       // 000000005DDC: 7EBE0280
	buffer_load_dword v11, v5, s[16:19], 0 offen               // 000000005DE0: E0501000 80040B05
	v_mov_b32_e32 v20, 0x358637bd                              // 000000005DE8: 7E2802FF 358637BD
	v_mov_b32_e32 v21, 0x358637bd                              // 000000005DF0: 7E2A02FF 358637BD
	v_max3_f32 v20, |v128|, |v129|, v20                        // 000000005DF8: D1D30314 04530380
	v_max3_f32 v20, |v130|, |v131|, v20                        // 000000005E00: D1D30314 04530782
	v_max3_f32 v21, |v132|, |v133|, v21                        // 000000005E08: D1D30315 04570B84
	v_max3_f32 v21, |v134|, |v135|, v21                        // 000000005E10: D1D30315 04570F86
	v_max3_f32 v20, |v136|, |v137|, v20                        // 000000005E18: D1D30314 04531388
	v_max3_f32 v20, |v138|, |v139|, v20                        // 000000005E20: D1D30314 0453178A
	v_max3_f32 v21, |v140|, |v141|, v21                        // 000000005E28: D1D30315 04571B8C
	v_max3_f32 v21, |v142|, |v143|, v21                        // 000000005E30: D1D30315 04571F8E
	v_lshlrev_b32_e32 v44, 3, v0                               // 000000005E38: 24580083
	s_mul_i32 s60, 0x200, s7                                   // 000000005E3C: 923C07FF 00000200
	v_add_u32_e32 v44, s60, v44                                // 000000005E44: 6858583C
	ds_write_b64 v44, v[20:21] offset:16640                    // 000000005E48: D89A4100 0000142C
	s_waitcnt lgkmcnt(0)                                       // 000000005E50: BF8CC07F
	s_barrier                                                  // 000000005E54: BF8A0000
	v_and_b32_e32 v44, 15, v0                                  // 000000005E58: 2658008F
	v_lshlrev_b32_e32 v44, 3, v44                              // 000000005E5C: 24585883
	ds_read_b64 v[96:97], v44 offset:16640                     // 000000005E60: D8EC4100 6000002C
	ds_read_b64 v[98:99], v44 offset:16768                     // 000000005E68: D8EC4180 6200002C
	ds_read_b64 v[100:101], v44 offset:16896                   // 000000005E70: D8EC4200 6400002C
	ds_read_b64 v[102:103], v44 offset:17024                   // 000000005E78: D8EC4280 6600002C
	ds_read_b64 v[104:105], v44 offset:17152                   // 000000005E80: D8EC4300 6800002C
	ds_read_b64 v[106:107], v44 offset:17280                   // 000000005E88: D8EC4380 6A00002C
	ds_read_b64 v[108:109], v44 offset:17408                   // 000000005E90: D8EC4400 6C00002C
	ds_read_b64 v[110:111], v44 offset:17536                   // 000000005E98: D8EC4480 6E00002C
	ds_read_b64 v[112:113], v44 offset:17664                   // 000000005EA0: D8EC4500 7000002C
	ds_read_b64 v[114:115], v44 offset:17792                   // 000000005EA8: D8EC4580 7200002C
	ds_read_b64 v[116:117], v44 offset:17920                   // 000000005EB0: D8EC4600 7400002C
	ds_read_b64 v[118:119], v44 offset:18048                   // 000000005EB8: D8EC4680 7600002C
	ds_read_b64 v[120:121], v44 offset:18176                   // 000000005EC0: D8EC4700 7800002C
	ds_read_b64 v[122:123], v44 offset:18304                   // 000000005EC8: D8EC4780 7A00002C
	ds_read_b64 v[124:125], v44 offset:18432                   // 000000005ED0: D8EC4800 7C00002C
	ds_read_b64 v[126:127], v44 offset:18560                   // 000000005ED8: D8EC4880 7E00002C
	s_waitcnt lgkmcnt(0)                                       // 000000005EE0: BF8CC07F
	v_max3_f32 v20, |v96|, |v98|, v20                          // 000000005EE4: D1D30314 0452C560
	v_max3_f32 v21, |v97|, |v99|, v21                          // 000000005EEC: D1D30315 0456C761
	v_max3_f32 v20, |v100|, |v102|, v20                        // 000000005EF4: D1D30314 0452CD64
	v_max3_f32 v21, |v101|, |v103|, v21                        // 000000005EFC: D1D30315 0456CF65
	v_max3_f32 v20, |v104|, |v106|, v20                        // 000000005F04: D1D30314 0452D568
	v_max3_f32 v21, |v105|, |v107|, v21                        // 000000005F0C: D1D30315 0456D769
	v_max3_f32 v20, |v108|, |v110|, v20                        // 000000005F14: D1D30314 0452DD6C
	v_max3_f32 v21, |v109|, |v111|, v21                        // 000000005F1C: D1D30315 0456DF6D
	v_max3_f32 v20, |v112|, |v114|, v20                        // 000000005F24: D1D30314 0452E570
	v_max3_f32 v21, |v113|, |v115|, v21                        // 000000005F2C: D1D30315 0456E771
	v_max3_f32 v20, |v116|, |v118|, v20                        // 000000005F34: D1D30314 0452ED74
	v_max3_f32 v21, |v117|, |v119|, v21                        // 000000005F3C: D1D30315 0456EF75
	v_max3_f32 v20, |v120|, |v122|, v20                        // 000000005F44: D1D30314 0452F578
	v_max3_f32 v21, |v121|, |v123|, v21                        // 000000005F4C: D1D30315 0456F779
	v_max3_f32 v20, |v124|, |v126|, v20                        // 000000005F54: D1D30314 0452FD7C
	v_max3_f32 v21, |v125|, |v127|, v21                        // 000000005F5C: D1D30315 0456FF7D
	v_rcp_f32_e32 v20, v20                                     // 000000005F64: 7E284514
	v_rcp_f32_e32 v21, v21                                     // 000000005F68: 7E2A4515
	v_mov_b32_e32 v44, 0x43e00000                              // 000000005F6C: 7E5802FF 43E00000
	v_mul_f32_e32 v20, v44, v20                                // 000000005F74: 0A28292C
	v_mul_f32_e32 v21, v44, v21                                // 000000005F78: 0A2A2B2C
	v_mul_f32_e32 v128, v20, v128                              // 000000005F7C: 0B010114
	v_mul_f32_e32 v129, v20, v129                              // 000000005F80: 0B030314
	v_mul_f32_e32 v130, v20, v130                              // 000000005F84: 0B050514
	v_mul_f32_e32 v131, v20, v131                              // 000000005F88: 0B070714
	v_cvt_pk_fp8_f32 v128, v128, v129                          // 000000005F8C: D2A20080 00030380
	v_cvt_pk_fp8_f32 v128, v130, v131 op_sel:[0,0,1]           // 000000005F94: D2A24080 00030782
	v_mul_f32_e32 v132, v21, v132                              // 000000005F9C: 0B090915
	v_mul_f32_e32 v133, v21, v133                              // 000000005FA0: 0B0B0B15
	v_mul_f32_e32 v134, v21, v134                              // 000000005FA4: 0B0D0D15
	v_mul_f32_e32 v135, v21, v135                              // 000000005FA8: 0B0F0F15
	v_cvt_pk_fp8_f32 v129, v132, v133                          // 000000005FAC: D2A20081 00030B84
	v_cvt_pk_fp8_f32 v129, v134, v135 op_sel:[0,0,1]           // 000000005FB4: D2A24081 00030F86
	v_mul_f32_e32 v136, v20, v136                              // 000000005FBC: 0B111114
	v_mul_f32_e32 v137, v20, v137                              // 000000005FC0: 0B131314
	v_mul_f32_e32 v138, v20, v138                              // 000000005FC4: 0B151514
	v_mul_f32_e32 v139, v20, v139                              // 000000005FC8: 0B171714
	v_cvt_pk_fp8_f32 v130, v136, v137                          // 000000005FCC: D2A20082 00031388
	v_cvt_pk_fp8_f32 v130, v138, v139 op_sel:[0,0,1]           // 000000005FD4: D2A24082 0003178A
	v_mul_f32_e32 v140, v21, v140                              // 000000005FDC: 0B191915
	v_mul_f32_e32 v141, v21, v141                              // 000000005FE0: 0B1B1B15
	v_mul_f32_e32 v142, v21, v142                              // 000000005FE4: 0B1D1D15
	v_mul_f32_e32 v143, v21, v143                              // 000000005FE8: 0B1F1F15
	v_cvt_pk_fp8_f32 v131, v140, v141                          // 000000005FEC: D2A20083 00031B8C
	v_cvt_pk_fp8_f32 v131, v142, v143 op_sel:[0,0,1]           // 000000005FF4: D2A24083 00031F8E
	v_rcp_f32_e32 v22, v20                                     // 000000005FFC: 7E2C4514
	v_rcp_f32_e32 v23, v21                                     // 000000006000: 7E2E4515
	v_lshrrev_b32_e32 v44, 5, v0                               // 000000006004: 20580085
	v_lshlrev_b32_e32 v45, 5, v44                              // 000000006008: 245A5885
	v_and_b32_e32 v44, 31, v0                                  // 00000000600C: 2658009F
	v_lshrrev_b32_e32 v46, 4, v44                              // 000000006010: 205C5884
	v_add_u32_e32 v45, v46, v45                                // 000000006014: 685A5B2E
	v_and_b32_e32 v44, 15, v0                                  // 000000006018: 2658008F
	v_lshlrev_b32_e32 v44, 1, v44                              // 00000000601C: 24585881
	v_add_u32_e32 v45, v44, v45                                // 000000006020: 685A5B2C
	v_lshlrev_b32_e32 v44, 2, v45                              // 000000006024: 24585A82
	s_mul_i32 s60, 0x100, s7                                   // 000000006028: 923C07FF 00000100
	v_add_u32_e64 v44, v44, s60                                // 000000006030: D134002C 0000792C
	ds_write_b32 v44, v128 offset:18688                        // 000000006038: D81A4900 0000802C
	ds_write_b32 v44, v129 offset:20736                        // 000000006040: D81A5100 0000812C
	ds_write_b32 v44, v130 offset:19712                        // 000000006048: D81A4D00 0000822C
	ds_write_b32 v44, v131 offset:21760                        // 000000006050: D81A5500 0000832C
	s_waitcnt lgkmcnt(0)                                       // 000000006058: BF8CC07F
	s_barrier                                                  // 00000000605C: BF8A0000
	v_lshrrev_b32_e32 v44, 4, v0                               // 000000006060: 20580084
	v_lshlrev_b32_e32 v45, 6, v44                              // 000000006064: 245A5886
	v_and_b32_e32 v44, 15, v0                                  // 000000006068: 2658008F
	v_lshlrev_b32_e32 v44, 1, v44                              // 00000000606C: 24585881
	v_add_u32_e32 v45, v44, v45                                // 000000006070: 685A5B2C
	v_lshlrev_b32_e32 v44, 2, v45                              // 000000006074: 24585A82
	ds_read_b64 v[128:129], v44 offset:18688                   // 000000006078: D8EC4900 8000002C
	ds_read_b64 v[130:131], v44 offset:18816                   // 000000006080: D8EC4980 8200002C
	ds_read_b64 v[132:133], v44 offset:19712                   // 000000006088: D8EC4D00 8400002C
	ds_read_b64 v[134:135], v44 offset:19840                   // 000000006090: D8EC4D80 8600002C
	ds_read_b64 v[136:137], v44 offset:20736                   // 000000006098: D8EC5100 8800002C
	ds_read_b64 v[138:139], v44 offset:20864                   // 0000000060A0: D8EC5180 8A00002C
	ds_read_b64 v[140:141], v44 offset:21760                   // 0000000060A8: D8EC5500 8C00002C
	ds_read_b64 v[142:143], v44 offset:21888                   // 0000000060B0: D8EC5580 8E00002C
	s_add_u32 s12, s56, s12                                    // 0000000060B8: 800C0C38
	s_addc_u32 s13, 0, s13                                     // 0000000060BC: 820D0D80
	s_add_u32 s16, s79, s16                                    // 0000000060C0: 8010104F
	s_addc_u32 s17, 0, s17                                     // 0000000060C4: 82111180
	s_mov_b32 s80, 0                                           // 0000000060C8: BED00080
	s_waitcnt vmcnt(0) expcnt(0) lgkmcnt(0)                    // 0000000060CC: BF8C0000

00000000000060d0 <label_0CB4>:
	s_waitcnt vmcnt(21)                                        // 0000000060D0: BF8C4F75
	s_barrier                                                  // 0000000060D4: BF8A0000
	v_mfma_f32_16x16x32_fp8_fp8 v[144:147], a[0:1], v[128:129], 0// 0000000060D8: D3F30090 0A030100
	buffer_load_dwordx4 a[32:35], v34, s[12:15], 0 offen       // 0000000060E0: E05C1000 80832022
	v_mfma_f32_16x16x32_fp8_fp8 v[144:147], a[2:3], v[130:131], v[144:147]// 0000000060E8: D3F30090 0E430502
	v_mfma_f32_16x16x32_fp8_fp8 v[148:151], a[0:1], v[136:137], 0// 0000000060F0: D3F30094 0A031100
	v_mfma_f32_16x16x32_fp8_fp8 v[148:151], a[2:3], v[138:139], v[148:151]// 0000000060F8: D3F30094 0E531502
	v_mfma_f32_16x16x32_fp8_fp8 v[152:155], a[4:5], v[128:129], 0// 000000006100: D3F30098 0A030104
	buffer_load_dwordx4 a[36:39], v35, s[12:15], 0 offen       // 000000006108: E05C1000 80832423
	v_mfma_f32_16x16x32_fp8_fp8 v[152:155], a[6:7], v[130:131], v[152:155]// 000000006110: D3F30098 0E630506
	v_mfma_f32_16x16x32_fp8_fp8 v[156:159], a[4:5], v[136:137], 0// 000000006118: D3F3009C 0A031104
	v_mfma_f32_16x16x32_fp8_fp8 v[156:159], a[6:7], v[138:139], v[156:159]// 000000006120: D3F3009C 0E731506
	v_mfma_f32_16x16x32_fp8_fp8 v[160:163], a[8:9], v[128:129], 0// 000000006128: D3F300A0 0A030108
	buffer_load_dwordx4 a[40:43], v36, s[12:15], 0 offen       // 000000006130: E05C1000 80832824
	v_mfma_f32_16x16x32_fp8_fp8 v[160:163], a[10:11], v[130:131], v[160:163]// 000000006138: D3F300A0 0E83050A
	v_mfma_f32_16x16x32_fp8_fp8 v[164:167], a[8:9], v[136:137], 0// 000000006140: D3F300A4 0A031108
	v_mfma_f32_16x16x32_fp8_fp8 v[164:167], a[10:11], v[138:139], v[164:167]// 000000006148: D3F300A4 0E93150A
	v_mfma_f32_16x16x32_fp8_fp8 v[168:171], a[12:13], v[128:129], 0// 000000006150: D3F300A8 0A03010C
	buffer_load_dwordx4 a[44:47], v37, s[12:15], 0 offen       // 000000006158: E05C1000 80832C25
	s_add_u32 s12, s78, s12                                    // 000000006160: 800C0C4E
	s_addc_u32 s13, 0, s13                                     // 000000006164: 820D0D80
	v_mfma_f32_16x16x32_fp8_fp8 v[168:171], a[14:15], v[130:131], v[168:171]// 000000006168: D3F300A8 0EA3050E
	v_mfma_f32_16x16x32_fp8_fp8 v[172:175], a[12:13], v[136:137], 0// 000000006170: D3F300AC 0A03110C
	v_mfma_f32_16x16x32_fp8_fp8 v[172:175], a[14:15], v[138:139], v[172:175]// 000000006178: D3F300AC 0EB3150E
	s_waitcnt vmcnt(20)                                        // 000000006180: BF8C4F74
	v_mfma_f32_16x16x32_fp8_fp8 v[144:147], a[16:17], v[132:133], v[144:147]// 000000006184: D3F30090 0E430910
	buffer_load_dwordx4 a[48:51], v34, s[12:15], 0 offen       // 00000000618C: E05C1000 80833022
	v_mfma_f32_16x16x32_fp8_fp8 v[144:147], a[18:19], v[134:135], v[144:147]// 000000006194: D3F30090 0E430D12
	v_mfma_f32_16x16x32_fp8_fp8 v[148:151], a[16:17], v[140:141], v[148:151]// 00000000619C: D3F30094 0E531910
	buffer_load_dword v12, v5, s[16:19], 0 offen               // 0000000061A4: E0501000 80040C05
	v_mfma_f32_16x16x32_fp8_fp8 v[148:151], a[18:19], v[142:143], v[148:151]// 0000000061AC: D3F30094 0E531D12
	v_mfma_f32_16x16x32_fp8_fp8 v[152:155], a[20:21], v[132:133], v[152:155]// 0000000061B4: D3F30098 0E630914
	buffer_load_dwordx4 a[52:55], v35, s[12:15], 0 offen       // 0000000061BC: E05C1000 80833423
	v_mfma_f32_16x16x32_fp8_fp8 v[152:155], a[22:23], v[134:135], v[152:155]// 0000000061C4: D3F30098 0E630D16
	v_mfma_f32_16x16x32_fp8_fp8 v[156:159], a[20:21], v[140:141], v[156:159]// 0000000061CC: D3F3009C 0E731914
	v_mfma_f32_16x16x32_fp8_fp8 v[156:159], a[22:23], v[142:143], v[156:159]// 0000000061D4: D3F3009C 0E731D16
	v_mfma_f32_16x16x32_fp8_fp8 v[160:163], a[24:25], v[132:133], v[160:163]// 0000000061DC: D3F300A0 0E830918
	buffer_load_dwordx4 a[56:59], v36, s[12:15], 0 offen       // 0000000061E4: E05C1000 80833824
	v_mfma_f32_16x16x32_fp8_fp8 v[160:163], a[26:27], v[134:135], v[160:163]// 0000000061EC: D3F300A0 0E830D1A
	v_mfma_f32_16x16x32_fp8_fp8 v[164:167], a[24:25], v[140:141], v[164:167]// 0000000061F4: D3F300A4 0E931918
	v_mfma_f32_16x16x32_fp8_fp8 v[164:167], a[26:27], v[142:143], v[164:167]// 0000000061FC: D3F300A4 0E931D1A
	v_mfma_f32_16x16x32_fp8_fp8 v[168:171], a[28:29], v[132:133], v[168:171]// 000000006204: D3F300A8 0EA3091C
	buffer_load_dwordx4 a[60:63], v37, s[12:15], 0 offen       // 00000000620C: E05C1000 80833C25
	v_mfma_f32_16x16x32_fp8_fp8 v[168:171], a[30:31], v[134:135], v[168:171]// 000000006214: D3F300A8 0EA30D1E
	v_mfma_f32_16x16x32_fp8_fp8 v[172:175], a[28:29], v[140:141], v[172:175]// 00000000621C: D3F300AC 0EB3191C
	v_mfma_f32_16x16x32_fp8_fp8 v[172:175], a[30:31], v[142:143], v[172:175]// 000000006224: D3F300AC 0EB31D1E
	s_add_u32 s60, 0x200, s80                                  // 00000000622C: 803C50FF 00000200
	s_cmp_lt_u32 s60, s81                                      // 000000006234: BF0A513C
	s_cselect_b32 s56, s56, 0                                  // 000000006238: 85388038
	s_cselect_b32 s78, s78, 0                                  // 00000000623C: 854E804E
	s_cselect_b32 s79, s79, 0                                  // 000000006240: 854F804F
	s_add_u32 s12, s56, s12                                    // 000000006244: 800C0C38
	s_addc_u32 s13, 0, s13                                     // 000000006248: 820D0D80
	s_add_u32 s16, s79, s16                                    // 00000000624C: 8010104F
	s_addc_u32 s17, 0, s17                                     // 000000006250: 82111180
	v_mul_f32_e32 v144, v22, v144                              // 000000006254: 0B212116
	v_mul_f32_e32 v145, v22, v145                              // 000000006258: 0B232316
	v_mul_f32_e32 v146, v22, v146                              // 00000000625C: 0B252516
	v_mul_f32_e32 v147, v22, v147                              // 000000006260: 0B272716
	v_mul_f32_dpp v144, v11, v144 row_newbcast:0 row_mask:0xf bank_mask:0xf// 000000006264: 0B2120FA FF01500B
	v_mul_f32_dpp v145, v11, v145 row_newbcast:1 row_mask:0xf bank_mask:0xf// 00000000626C: 0B2322FA FF01510B
	v_mul_f32_dpp v146, v11, v146 row_newbcast:2 row_mask:0xf bank_mask:0xf// 000000006274: 0B2524FA FF01520B
	v_mul_f32_dpp v147, v11, v147 row_newbcast:3 row_mask:0xf bank_mask:0xf// 00000000627C: 0B2726FA FF01530B
	v_mul_f32_e32 v148, v23, v148                              // 000000006284: 0B292917
	v_mul_f32_e32 v149, v23, v149                              // 000000006288: 0B2B2B17
	v_mul_f32_e32 v150, v23, v150                              // 00000000628C: 0B2D2D17
	v_mul_f32_e32 v151, v23, v151                              // 000000006290: 0B2F2F17
	v_mul_f32_dpp v148, v11, v148 row_newbcast:0 row_mask:0xf bank_mask:0xf// 000000006294: 0B2928FA FF01500B
	v_mul_f32_dpp v149, v11, v149 row_newbcast:1 row_mask:0xf bank_mask:0xf// 00000000629C: 0B2B2AFA FF01510B
	v_mul_f32_dpp v150, v11, v150 row_newbcast:2 row_mask:0xf bank_mask:0xf// 0000000062A4: 0B2D2CFA FF01520B
	v_mul_f32_dpp v151, v11, v151 row_newbcast:3 row_mask:0xf bank_mask:0xf// 0000000062AC: 0B2F2EFA FF01530B
	v_mul_f32_e32 v152, v22, v152                              // 0000000062B4: 0B313116
	v_mul_f32_e32 v153, v22, v153                              // 0000000062B8: 0B333316
	v_mul_f32_e32 v154, v22, v154                              // 0000000062BC: 0B353516
	v_mul_f32_e32 v155, v22, v155                              // 0000000062C0: 0B373716
	v_mul_f32_dpp v152, v11, v152 row_newbcast:4 row_mask:0xf bank_mask:0xf// 0000000062C4: 0B3130FA FF01540B
	v_mul_f32_dpp v153, v11, v153 row_newbcast:5 row_mask:0xf bank_mask:0xf// 0000000062CC: 0B3332FA FF01550B
	v_mul_f32_dpp v154, v11, v154 row_newbcast:6 row_mask:0xf bank_mask:0xf// 0000000062D4: 0B3534FA FF01560B
	v_mul_f32_dpp v155, v11, v155 row_newbcast:7 row_mask:0xf bank_mask:0xf// 0000000062DC: 0B3736FA FF01570B
	v_mul_f32_e32 v156, v23, v156                              // 0000000062E4: 0B393917
	v_mul_f32_e32 v157, v23, v157                              // 0000000062E8: 0B3B3B17
	v_mul_f32_e32 v158, v23, v158                              // 0000000062EC: 0B3D3D17
	v_mul_f32_e32 v159, v23, v159                              // 0000000062F0: 0B3F3F17
	v_mul_f32_dpp v156, v11, v156 row_newbcast:4 row_mask:0xf bank_mask:0xf// 0000000062F4: 0B3938FA FF01540B
	v_mul_f32_dpp v157, v11, v157 row_newbcast:5 row_mask:0xf bank_mask:0xf// 0000000062FC: 0B3B3AFA FF01550B
	v_mul_f32_dpp v158, v11, v158 row_newbcast:6 row_mask:0xf bank_mask:0xf// 000000006304: 0B3D3CFA FF01560B
	v_mul_f32_dpp v159, v11, v159 row_newbcast:7 row_mask:0xf bank_mask:0xf// 00000000630C: 0B3F3EFA FF01570B
	v_mul_f32_e32 v160, v22, v160                              // 000000006314: 0B414116
	v_mul_f32_e32 v161, v22, v161                              // 000000006318: 0B434316
	v_mul_f32_e32 v162, v22, v162                              // 00000000631C: 0B454516
	v_mul_f32_e32 v163, v22, v163                              // 000000006320: 0B474716
	v_mul_f32_dpp v160, v11, v160 row_newbcast:8 row_mask:0xf bank_mask:0xf// 000000006324: 0B4140FA FF01580B
	v_mul_f32_dpp v161, v11, v161 row_newbcast:9 row_mask:0xf bank_mask:0xf// 00000000632C: 0B4342FA FF01590B
	v_mul_f32_dpp v162, v11, v162 row_newbcast:10 row_mask:0xf bank_mask:0xf// 000000006334: 0B4544FA FF015A0B
	v_mul_f32_dpp v163, v11, v163 row_newbcast:11 row_mask:0xf bank_mask:0xf// 00000000633C: 0B4746FA FF015B0B
	v_mul_f32_e32 v164, v23, v164                              // 000000006344: 0B494917
	v_mul_f32_e32 v165, v23, v165                              // 000000006348: 0B4B4B17
	v_mul_f32_e32 v166, v23, v166                              // 00000000634C: 0B4D4D17
	v_mul_f32_e32 v167, v23, v167                              // 000000006350: 0B4F4F17
	v_mul_f32_dpp v164, v11, v164 row_newbcast:8 row_mask:0xf bank_mask:0xf// 000000006354: 0B4948FA FF01580B
	v_mul_f32_dpp v165, v11, v165 row_newbcast:9 row_mask:0xf bank_mask:0xf// 00000000635C: 0B4B4AFA FF01590B
	v_mul_f32_dpp v166, v11, v166 row_newbcast:10 row_mask:0xf bank_mask:0xf// 000000006364: 0B4D4CFA FF015A0B
	v_mul_f32_dpp v167, v11, v167 row_newbcast:11 row_mask:0xf bank_mask:0xf// 00000000636C: 0B4F4EFA FF015B0B
	v_mul_f32_e32 v168, v22, v168                              // 000000006374: 0B515116
	v_mul_f32_e32 v169, v22, v169                              // 000000006378: 0B535316
	v_mul_f32_e32 v170, v22, v170                              // 00000000637C: 0B555516
	v_mul_f32_e32 v171, v22, v171                              // 000000006380: 0B575716
	v_mul_f32_dpp v168, v11, v168 row_newbcast:12 row_mask:0xf bank_mask:0xf// 000000006384: 0B5150FA FF015C0B
	v_mul_f32_dpp v169, v11, v169 row_newbcast:13 row_mask:0xf bank_mask:0xf// 00000000638C: 0B5352FA FF015D0B
	v_mul_f32_dpp v170, v11, v170 row_newbcast:14 row_mask:0xf bank_mask:0xf// 000000006394: 0B5554FA FF015E0B
	v_mul_f32_dpp v171, v11, v171 row_newbcast:15 row_mask:0xf bank_mask:0xf// 00000000639C: 0B5756FA FF015F0B
	v_mul_f32_e32 v172, v23, v172                              // 0000000063A4: 0B595917
	v_mul_f32_e32 v173, v23, v173                              // 0000000063A8: 0B5B5B17
	v_mul_f32_e32 v174, v23, v174                              // 0000000063AC: 0B5D5D17
	v_mul_f32_e32 v175, v23, v175                              // 0000000063B0: 0B5F5F17
	v_mul_f32_dpp v172, v11, v172 row_newbcast:12 row_mask:0xf bank_mask:0xf// 0000000063B4: 0B5958FA FF015C0B
	v_mul_f32_dpp v173, v11, v173 row_newbcast:13 row_mask:0xf bank_mask:0xf// 0000000063BC: 0B5B5AFA FF015D0B
	v_mul_f32_dpp v174, v11, v174 row_newbcast:14 row_mask:0xf bank_mask:0xf// 0000000063C4: 0B5D5CFA FF015E0B
	v_mul_f32_dpp v175, v11, v175 row_newbcast:15 row_mask:0xf bank_mask:0xf// 0000000063CC: 0B5F5EFA FF015F0B
	v_cvt_pkrtz_f16_f32 v144, v144, v145                       // 0000000063D4: D2960090 00032390
	v_cvt_pkrtz_f16_f32 v145, v146, v147                       // 0000000063DC: D2960091 00032792
	v_cvt_pkrtz_f16_f32 v146, v148, v149                       // 0000000063E4: D2960092 00032B94
	v_cvt_pkrtz_f16_f32 v147, v150, v151                       // 0000000063EC: D2960093 00032F96
	v_cvt_pkrtz_f16_f32 v148, v152, v153                       // 0000000063F4: D2960094 00033398
	v_cvt_pkrtz_f16_f32 v149, v154, v155                       // 0000000063FC: D2960095 0003379A
	v_cvt_pkrtz_f16_f32 v150, v156, v157                       // 000000006404: D2960096 00033B9C
	v_cvt_pkrtz_f16_f32 v151, v158, v159                       // 00000000640C: D2960097 00033F9E
	v_cvt_pkrtz_f16_f32 v152, v160, v161                       // 000000006414: D2960098 000343A0
	v_cvt_pkrtz_f16_f32 v153, v162, v163                       // 00000000641C: D2960099 000347A2
	v_cvt_pkrtz_f16_f32 v154, v164, v165                       // 000000006424: D296009A 00034BA4
	v_cvt_pkrtz_f16_f32 v155, v166, v167                       // 00000000642C: D296009B 00034FA6
	v_cvt_pkrtz_f16_f32 v156, v168, v169                       // 000000006434: D296009C 000353A8
	v_cvt_pkrtz_f16_f32 v157, v170, v171                       // 00000000643C: D296009D 000357AA
	v_cvt_pkrtz_f16_f32 v158, v172, v173                       // 000000006444: D296009E 00035BAC
	v_cvt_pkrtz_f16_f32 v159, v174, v175                       // 00000000644C: D296009F 00035FAE
	ds_write_b64 v3, v[144:145] offset:22784                   // 000000006454: D89A5900 00009003
	ds_write_b64 v3, v[146:147] offset:31488                   // 00000000645C: D89A7B00 00009203
	ds_write_b64 v3, v[148:149] offset:24960                   // 000000006464: D89A6180 00009403
	ds_write_b64 v3, v[150:151] offset:33664                   // 00000000646C: D89A8380 00009603
	ds_write_b64 v3, v[152:153] offset:27136                   // 000000006474: D89A6A00 00009803
	ds_write_b64 v3, v[154:155] offset:35840                   // 00000000647C: D89A8C00 00009A03
	ds_write_b64 v3, v[156:157] offset:29312                   // 000000006484: D89A7280 00009C03
	ds_write_b64 v3, v[158:159] offset:38016                   // 00000000648C: D89A9480 00009E03
	s_waitcnt lgkmcnt(0)                                       // 000000006494: BF8CC07F
	s_barrier                                                  // 000000006498: BF8A0000
	ds_read_b32 v64, v4 offset:22784                           // 00000000649C: D86C5900 40000004
	ds_read_b32 v65, v4 offset:27136                           // 0000000064A4: D86C6A00 41000004
	ds_read_b32 v66, v4 offset:22816                           // 0000000064AC: D86C5920 42000004
	ds_read_b32 v67, v4 offset:27168                           // 0000000064B4: D86C6A20 43000004
	ds_read_b32 v68, v4 offset:22848                           // 0000000064BC: D86C5940 44000004
	ds_read_b32 v69, v4 offset:27200                           // 0000000064C4: D86C6A40 45000004
	ds_read_b32 v70, v4 offset:22880                           // 0000000064CC: D86C5960 46000004
	ds_read_b32 v71, v4 offset:27232                           // 0000000064D4: D86C6A60 47000004
	ds_read_b32 v72, v4 offset:31488                           // 0000000064DC: D86C7B00 48000004
	ds_read_b32 v73, v4 offset:35840                           // 0000000064E4: D86C8C00 49000004
	ds_read_b32 v74, v4 offset:31520                           // 0000000064EC: D86C7B20 4A000004
	ds_read_b32 v75, v4 offset:35872                           // 0000000064F4: D86C8C20 4B000004
	ds_read_b32 v76, v4 offset:31552                           // 0000000064FC: D86C7B40 4C000004
	ds_read_b32 v77, v4 offset:35904                           // 000000006504: D86C8C40 4D000004
	ds_read_b32 v78, v4 offset:31584                           // 00000000650C: D86C7B60 4E000004
	ds_read_b32 v79, v4 offset:35936                           // 000000006514: D86C8C60 4F000004
	s_waitcnt lgkmcnt(0)                                       // 00000000651C: BF8CC07F
	s_mov_b64 exec, s[20:21]                                   // 000000006520: BEFE0114
	global_atomic_pk_add_f16 v80, v64, s[8:9]                  // 000000006524: DD388000 00084050
	s_mov_b64 exec, s[36:37]                                   // 00000000652C: BEFE0124
	s_mov_b64 exec, s[20:21]                                   // 000000006530: BEFE0114
	global_atomic_pk_add_f16 v80, v65, s[8:9] offset:256       // 000000006534: DD388100 00084150
	s_mov_b64 exec, s[36:37]                                   // 00000000653C: BEFE0124
	s_mov_b64 exec, s[22:23]                                   // 000000006540: BEFE0116
	global_atomic_pk_add_f16 v82, v66, s[8:9]                  // 000000006544: DD388000 00084252
	s_mov_b64 exec, s[36:37]                                   // 00000000654C: BEFE0124
	s_mov_b64 exec, s[22:23]                                   // 000000006550: BEFE0116
	global_atomic_pk_add_f16 v82, v67, s[8:9] offset:256       // 000000006554: DD388100 00084352
	s_mov_b64 exec, s[36:37]                                   // 00000000655C: BEFE0124
	s_mov_b64 exec, s[24:25]                                   // 000000006560: BEFE0118
	global_atomic_pk_add_f16 v84, v68, s[8:9]                  // 000000006564: DD388000 00084454
	s_mov_b64 exec, s[36:37]                                   // 00000000656C: BEFE0124
	s_mov_b64 exec, s[24:25]                                   // 000000006570: BEFE0118
	global_atomic_pk_add_f16 v84, v69, s[8:9] offset:256       // 000000006574: DD388100 00084554
	s_mov_b64 exec, s[36:37]                                   // 00000000657C: BEFE0124
	s_mov_b64 exec, s[26:27]                                   // 000000006580: BEFE011A
	global_atomic_pk_add_f16 v86, v70, s[8:9]                  // 000000006584: DD388000 00084656
	s_mov_b64 exec, s[36:37]                                   // 00000000658C: BEFE0124
	s_mov_b64 exec, s[26:27]                                   // 000000006590: BEFE011A
	global_atomic_pk_add_f16 v86, v71, s[8:9] offset:256       // 000000006594: DD388100 00084756
	s_mov_b64 exec, s[36:37]                                   // 00000000659C: BEFE0124
	s_mov_b64 exec, s[28:29]                                   // 0000000065A0: BEFE011C
	global_atomic_pk_add_f16 v88, v72, s[8:9]                  // 0000000065A4: DD388000 00084858
	s_mov_b64 exec, s[36:37]                                   // 0000000065AC: BEFE0124
	s_mov_b64 exec, s[28:29]                                   // 0000000065B0: BEFE011C
	global_atomic_pk_add_f16 v88, v73, s[8:9] offset:256       // 0000000065B4: DD388100 00084958
	s_mov_b64 exec, s[36:37]                                   // 0000000065BC: BEFE0124
	s_mov_b64 exec, s[30:31]                                   // 0000000065C0: BEFE011E
	global_atomic_pk_add_f16 v90, v74, s[8:9]                  // 0000000065C4: DD388000 00084A5A
	s_mov_b64 exec, s[36:37]                                   // 0000000065CC: BEFE0124
	s_mov_b64 exec, s[30:31]                                   // 0000000065D0: BEFE011E
	global_atomic_pk_add_f16 v90, v75, s[8:9] offset:256       // 0000000065D4: DD388100 00084B5A
	s_mov_b64 exec, s[36:37]                                   // 0000000065DC: BEFE0124
	s_mov_b64 exec, s[32:33]                                   // 0000000065E0: BEFE0120
	global_atomic_pk_add_f16 v92, v76, s[8:9]                  // 0000000065E4: DD388000 00084C5C
	s_mov_b64 exec, s[36:37]                                   // 0000000065EC: BEFE0124
	s_mov_b64 exec, s[32:33]                                   // 0000000065F0: BEFE0120
	global_atomic_pk_add_f16 v92, v77, s[8:9] offset:256       // 0000000065F4: DD388100 00084D5C
	s_mov_b64 exec, s[36:37]                                   // 0000000065FC: BEFE0124
	s_mov_b64 exec, s[34:35]                                   // 000000006600: BEFE0122
	global_atomic_pk_add_f16 v94, v78, s[8:9]                  // 000000006604: DD388000 00084E5E
	s_mov_b64 exec, s[36:37]                                   // 00000000660C: BEFE0124
	s_mov_b64 exec, s[34:35]                                   // 000000006610: BEFE0122
	global_atomic_pk_add_f16 v94, v79, s[8:9] offset:256       // 000000006614: DD388100 00084F5E
	s_mov_b64 exec, s[36:37]                                   // 00000000661C: BEFE0124
	s_add_u32 s8, s59, s8                                      // 000000006620: 8008083B
	s_addc_u32 s9, 0, s9                                       // 000000006624: 82090980
	s_addk_i32 s80, 0x100                                      // 000000006628: B7500100
	s_cmp_lt_i32 s80, s81                                      // 00000000662C: BF045150
	s_cbranch_scc0 label_08E4                                  // 000000006630: BF84FAD7
	s_waitcnt vmcnt(21)                                        // 000000006634: BF8C4F75
	s_barrier                                                  // 000000006638: BF8A0000
	v_mfma_f32_16x16x32_fp8_fp8 v[176:179], a[32:33], v[128:129], 0// 00000000663C: D3F300B0 0A030120
	buffer_load_dwordx4 a[0:3], v34, s[12:15], 0 offen         // 000000006644: E05C1000 80830022
	v_mfma_f32_16x16x32_fp8_fp8 v[176:179], a[34:35], v[130:131], v[176:179]// 00000000664C: D3F300B0 0EC30522
	v_mfma_f32_16x16x32_fp8_fp8 v[180:183], a[32:33], v[136:137], 0// 000000006654: D3F300B4 0A031120
	v_mfma_f32_16x16x32_fp8_fp8 v[180:183], a[34:35], v[138:139], v[180:183]// 00000000665C: D3F300B4 0ED31522
	v_mfma_f32_16x16x32_fp8_fp8 v[184:187], a[36:37], v[128:129], 0// 000000006664: D3F300B8 0A030124
	buffer_load_dwordx4 a[4:7], v35, s[12:15], 0 offen         // 00000000666C: E05C1000 80830423
	v_mfma_f32_16x16x32_fp8_fp8 v[184:187], a[38:39], v[130:131], v[184:187]// 000000006674: D3F300B8 0EE30526
	v_mfma_f32_16x16x32_fp8_fp8 v[188:191], a[36:37], v[136:137], 0// 00000000667C: D3F300BC 0A031124
	v_mfma_f32_16x16x32_fp8_fp8 v[188:191], a[38:39], v[138:139], v[188:191]// 000000006684: D3F300BC 0EF31526
	v_mfma_f32_16x16x32_fp8_fp8 v[192:195], a[40:41], v[128:129], 0// 00000000668C: D3F300C0 0A030128
	buffer_load_dwordx4 a[8:11], v36, s[12:15], 0 offen        // 000000006694: E05C1000 80830824
	v_mfma_f32_16x16x32_fp8_fp8 v[192:195], a[42:43], v[130:131], v[192:195]// 00000000669C: D3F300C0 0F03052A
	v_mfma_f32_16x16x32_fp8_fp8 v[196:199], a[40:41], v[136:137], 0// 0000000066A4: D3F300C4 0A031128
	v_mfma_f32_16x16x32_fp8_fp8 v[196:199], a[42:43], v[138:139], v[196:199]// 0000000066AC: D3F300C4 0F13152A
	v_mfma_f32_16x16x32_fp8_fp8 v[200:203], a[44:45], v[128:129], 0// 0000000066B4: D3F300C8 0A03012C
	buffer_load_dwordx4 a[12:15], v37, s[12:15], 0 offen       // 0000000066BC: E05C1000 80830C25
	s_add_u32 s12, s78, s12                                    // 0000000066C4: 800C0C4E
	s_addc_u32 s13, 0, s13                                     // 0000000066C8: 820D0D80
	v_mfma_f32_16x16x32_fp8_fp8 v[200:203], a[46:47], v[130:131], v[200:203]// 0000000066CC: D3F300C8 0F23052E
	v_mfma_f32_16x16x32_fp8_fp8 v[204:207], a[44:45], v[136:137], 0// 0000000066D4: D3F300CC 0A03112C
	v_mfma_f32_16x16x32_fp8_fp8 v[204:207], a[46:47], v[138:139], v[204:207]// 0000000066DC: D3F300CC 0F33152E
	s_waitcnt vmcnt(20)                                        // 0000000066E4: BF8C4F74
	v_mfma_f32_16x16x32_fp8_fp8 v[176:179], a[48:49], v[132:133], v[176:179]// 0000000066E8: D3F300B0 0EC30930
	buffer_load_dwordx4 a[16:19], v34, s[12:15], 0 offen       // 0000000066F0: E05C1000 80831022
	v_mfma_f32_16x16x32_fp8_fp8 v[176:179], a[50:51], v[134:135], v[176:179]// 0000000066F8: D3F300B0 0EC30D32
	v_mfma_f32_16x16x32_fp8_fp8 v[180:183], a[48:49], v[140:141], v[180:183]// 000000006700: D3F300B4 0ED31930
	buffer_load_dword v11, v5, s[16:19], 0 offen               // 000000006708: E0501000 80040B05
	v_mfma_f32_16x16x32_fp8_fp8 v[180:183], a[50:51], v[142:143], v[180:183]// 000000006710: D3F300B4 0ED31D32
	v_mfma_f32_16x16x32_fp8_fp8 v[184:187], a[52:53], v[132:133], v[184:187]// 000000006718: D3F300B8 0EE30934
	buffer_load_dwordx4 a[20:23], v35, s[12:15], 0 offen       // 000000006720: E05C1000 80831423
	v_mfma_f32_16x16x32_fp8_fp8 v[184:187], a[54:55], v[134:135], v[184:187]// 000000006728: D3F300B8 0EE30D36
	v_mfma_f32_16x16x32_fp8_fp8 v[188:191], a[52:53], v[140:141], v[188:191]// 000000006730: D3F300BC 0EF31934
	v_mfma_f32_16x16x32_fp8_fp8 v[188:191], a[54:55], v[142:143], v[188:191]// 000000006738: D3F300BC 0EF31D36
	v_mfma_f32_16x16x32_fp8_fp8 v[192:195], a[56:57], v[132:133], v[192:195]// 000000006740: D3F300C0 0F030938
	buffer_load_dwordx4 a[24:27], v36, s[12:15], 0 offen       // 000000006748: E05C1000 80831824
	v_mfma_f32_16x16x32_fp8_fp8 v[192:195], a[58:59], v[134:135], v[192:195]// 000000006750: D3F300C0 0F030D3A
	v_mfma_f32_16x16x32_fp8_fp8 v[196:199], a[56:57], v[140:141], v[196:199]// 000000006758: D3F300C4 0F131938
	v_mfma_f32_16x16x32_fp8_fp8 v[196:199], a[58:59], v[142:143], v[196:199]// 000000006760: D3F300C4 0F131D3A
	v_mfma_f32_16x16x32_fp8_fp8 v[200:203], a[60:61], v[132:133], v[200:203]// 000000006768: D3F300C8 0F23093C
	buffer_load_dwordx4 a[28:31], v37, s[12:15], 0 offen       // 000000006770: E05C1000 80831C25
	v_mfma_f32_16x16x32_fp8_fp8 v[200:203], a[62:63], v[134:135], v[200:203]// 000000006778: D3F300C8 0F230D3E
	v_mfma_f32_16x16x32_fp8_fp8 v[204:207], a[60:61], v[140:141], v[204:207]// 000000006780: D3F300CC 0F33193C
	v_mfma_f32_16x16x32_fp8_fp8 v[204:207], a[62:63], v[142:143], v[204:207]// 000000006788: D3F300CC 0F331D3E
	s_add_u32 s60, 0x200, s80                                  // 000000006790: 803C50FF 00000200
	s_cmp_lt_u32 s60, s81                                      // 000000006798: BF0A513C
	s_cselect_b32 s56, s56, 0                                  // 00000000679C: 85388038
	s_cselect_b32 s78, s78, 0                                  // 0000000067A0: 854E804E
	s_cselect_b32 s79, s79, 0                                  // 0000000067A4: 854F804F
	s_add_u32 s12, s56, s12                                    // 0000000067A8: 800C0C38
	s_addc_u32 s13, 0, s13                                     // 0000000067AC: 820D0D80
	s_add_u32 s16, s79, s16                                    // 0000000067B0: 8010104F
	s_addc_u32 s17, 0, s17                                     // 0000000067B4: 82111180
	v_mul_f32_e32 v176, v22, v176                              // 0000000067B8: 0B616116
	v_mul_f32_e32 v177, v22, v177                              // 0000000067BC: 0B636316
	v_mul_f32_e32 v178, v22, v178                              // 0000000067C0: 0B656516
	v_mul_f32_e32 v179, v22, v179                              // 0000000067C4: 0B676716
	v_mul_f32_dpp v176, v12, v176 row_newbcast:0 row_mask:0xf bank_mask:0xf// 0000000067C8: 0B6160FA FF01500C
	v_mul_f32_dpp v177, v12, v177 row_newbcast:1 row_mask:0xf bank_mask:0xf// 0000000067D0: 0B6362FA FF01510C
	v_mul_f32_dpp v178, v12, v178 row_newbcast:2 row_mask:0xf bank_mask:0xf// 0000000067D8: 0B6564FA FF01520C
	v_mul_f32_dpp v179, v12, v179 row_newbcast:3 row_mask:0xf bank_mask:0xf// 0000000067E0: 0B6766FA FF01530C
	v_mul_f32_e32 v180, v23, v180                              // 0000000067E8: 0B696917
	v_mul_f32_e32 v181, v23, v181                              // 0000000067EC: 0B6B6B17
	v_mul_f32_e32 v182, v23, v182                              // 0000000067F0: 0B6D6D17
	v_mul_f32_e32 v183, v23, v183                              // 0000000067F4: 0B6F6F17
	v_mul_f32_dpp v180, v12, v180 row_newbcast:0 row_mask:0xf bank_mask:0xf// 0000000067F8: 0B6968FA FF01500C
	v_mul_f32_dpp v181, v12, v181 row_newbcast:1 row_mask:0xf bank_mask:0xf// 000000006800: 0B6B6AFA FF01510C
	v_mul_f32_dpp v182, v12, v182 row_newbcast:2 row_mask:0xf bank_mask:0xf// 000000006808: 0B6D6CFA FF01520C
	v_mul_f32_dpp v183, v12, v183 row_newbcast:3 row_mask:0xf bank_mask:0xf// 000000006810: 0B6F6EFA FF01530C
	v_mul_f32_e32 v184, v22, v184                              // 000000006818: 0B717116
	v_mul_f32_e32 v185, v22, v185                              // 00000000681C: 0B737316
	v_mul_f32_e32 v186, v22, v186                              // 000000006820: 0B757516
	v_mul_f32_e32 v187, v22, v187                              // 000000006824: 0B777716
	v_mul_f32_dpp v184, v12, v184 row_newbcast:4 row_mask:0xf bank_mask:0xf// 000000006828: 0B7170FA FF01540C
	v_mul_f32_dpp v185, v12, v185 row_newbcast:5 row_mask:0xf bank_mask:0xf// 000000006830: 0B7372FA FF01550C
	v_mul_f32_dpp v186, v12, v186 row_newbcast:6 row_mask:0xf bank_mask:0xf// 000000006838: 0B7574FA FF01560C
	v_mul_f32_dpp v187, v12, v187 row_newbcast:7 row_mask:0xf bank_mask:0xf// 000000006840: 0B7776FA FF01570C
	v_mul_f32_e32 v188, v23, v188                              // 000000006848: 0B797917
	v_mul_f32_e32 v189, v23, v189                              // 00000000684C: 0B7B7B17
	v_mul_f32_e32 v190, v23, v190                              // 000000006850: 0B7D7D17
	v_mul_f32_e32 v191, v23, v191                              // 000000006854: 0B7F7F17
	v_mul_f32_dpp v188, v12, v188 row_newbcast:4 row_mask:0xf bank_mask:0xf// 000000006858: 0B7978FA FF01540C
	v_mul_f32_dpp v189, v12, v189 row_newbcast:5 row_mask:0xf bank_mask:0xf// 000000006860: 0B7B7AFA FF01550C
	v_mul_f32_dpp v190, v12, v190 row_newbcast:6 row_mask:0xf bank_mask:0xf// 000000006868: 0B7D7CFA FF01560C
	v_mul_f32_dpp v191, v12, v191 row_newbcast:7 row_mask:0xf bank_mask:0xf// 000000006870: 0B7F7EFA FF01570C
	v_mul_f32_e32 v192, v22, v192                              // 000000006878: 0B818116
	v_mul_f32_e32 v193, v22, v193                              // 00000000687C: 0B838316
	v_mul_f32_e32 v194, v22, v194                              // 000000006880: 0B858516
	v_mul_f32_e32 v195, v22, v195                              // 000000006884: 0B878716
	v_mul_f32_dpp v192, v12, v192 row_newbcast:8 row_mask:0xf bank_mask:0xf// 000000006888: 0B8180FA FF01580C
	v_mul_f32_dpp v193, v12, v193 row_newbcast:9 row_mask:0xf bank_mask:0xf// 000000006890: 0B8382FA FF01590C
	v_mul_f32_dpp v194, v12, v194 row_newbcast:10 row_mask:0xf bank_mask:0xf// 000000006898: 0B8584FA FF015A0C
	v_mul_f32_dpp v195, v12, v195 row_newbcast:11 row_mask:0xf bank_mask:0xf// 0000000068A0: 0B8786FA FF015B0C
	v_mul_f32_e32 v196, v23, v196                              // 0000000068A8: 0B898917
	v_mul_f32_e32 v197, v23, v197                              // 0000000068AC: 0B8B8B17
	v_mul_f32_e32 v198, v23, v198                              // 0000000068B0: 0B8D8D17
	v_mul_f32_e32 v199, v23, v199                              // 0000000068B4: 0B8F8F17
	v_mul_f32_dpp v196, v12, v196 row_newbcast:8 row_mask:0xf bank_mask:0xf// 0000000068B8: 0B8988FA FF01580C
	v_mul_f32_dpp v197, v12, v197 row_newbcast:9 row_mask:0xf bank_mask:0xf// 0000000068C0: 0B8B8AFA FF01590C
	v_mul_f32_dpp v198, v12, v198 row_newbcast:10 row_mask:0xf bank_mask:0xf// 0000000068C8: 0B8D8CFA FF015A0C
	v_mul_f32_dpp v199, v12, v199 row_newbcast:11 row_mask:0xf bank_mask:0xf// 0000000068D0: 0B8F8EFA FF015B0C
	v_mul_f32_e32 v200, v22, v200                              // 0000000068D8: 0B919116
	v_mul_f32_e32 v201, v22, v201                              // 0000000068DC: 0B939316
	v_mul_f32_e32 v202, v22, v202                              // 0000000068E0: 0B959516
	v_mul_f32_e32 v203, v22, v203                              // 0000000068E4: 0B979716
	v_mul_f32_dpp v200, v12, v200 row_newbcast:12 row_mask:0xf bank_mask:0xf// 0000000068E8: 0B9190FA FF015C0C
	v_mul_f32_dpp v201, v12, v201 row_newbcast:13 row_mask:0xf bank_mask:0xf// 0000000068F0: 0B9392FA FF015D0C
	v_mul_f32_dpp v202, v12, v202 row_newbcast:14 row_mask:0xf bank_mask:0xf// 0000000068F8: 0B9594FA FF015E0C
	v_mul_f32_dpp v203, v12, v203 row_newbcast:15 row_mask:0xf bank_mask:0xf// 000000006900: 0B9796FA FF015F0C
	v_mul_f32_e32 v204, v23, v204                              // 000000006908: 0B999917
	v_mul_f32_e32 v205, v23, v205                              // 00000000690C: 0B9B9B17
	v_mul_f32_e32 v206, v23, v206                              // 000000006910: 0B9D9D17
	v_mul_f32_e32 v207, v23, v207                              // 000000006914: 0B9F9F17
	v_mul_f32_dpp v204, v12, v204 row_newbcast:12 row_mask:0xf bank_mask:0xf// 000000006918: 0B9998FA FF015C0C
	v_mul_f32_dpp v205, v12, v205 row_newbcast:13 row_mask:0xf bank_mask:0xf// 000000006920: 0B9B9AFA FF015D0C
	v_mul_f32_dpp v206, v12, v206 row_newbcast:14 row_mask:0xf bank_mask:0xf// 000000006928: 0B9D9CFA FF015E0C
	v_mul_f32_dpp v207, v12, v207 row_newbcast:15 row_mask:0xf bank_mask:0xf// 000000006930: 0B9F9EFA FF015F0C
	v_cvt_pkrtz_f16_f32 v176, v176, v177                       // 000000006938: D29600B0 000363B0
	v_cvt_pkrtz_f16_f32 v177, v178, v179                       // 000000006940: D29600B1 000367B2
	v_cvt_pkrtz_f16_f32 v178, v180, v181                       // 000000006948: D29600B2 00036BB4
	v_cvt_pkrtz_f16_f32 v179, v182, v183                       // 000000006950: D29600B3 00036FB6
	v_cvt_pkrtz_f16_f32 v180, v184, v185                       // 000000006958: D29600B4 000373B8
	v_cvt_pkrtz_f16_f32 v181, v186, v187                       // 000000006960: D29600B5 000377BA
	v_cvt_pkrtz_f16_f32 v182, v188, v189                       // 000000006968: D29600B6 00037BBC
	v_cvt_pkrtz_f16_f32 v183, v190, v191                       // 000000006970: D29600B7 00037FBE
	v_cvt_pkrtz_f16_f32 v184, v192, v193                       // 000000006978: D29600B8 000383C0
	v_cvt_pkrtz_f16_f32 v185, v194, v195                       // 000000006980: D29600B9 000387C2
	v_cvt_pkrtz_f16_f32 v186, v196, v197                       // 000000006988: D29600BA 00038BC4
	v_cvt_pkrtz_f16_f32 v187, v198, v199                       // 000000006990: D29600BB 00038FC6
	v_cvt_pkrtz_f16_f32 v188, v200, v201                       // 000000006998: D29600BC 000393C8
	v_cvt_pkrtz_f16_f32 v189, v202, v203                       // 0000000069A0: D29600BD 000397CA
	v_cvt_pkrtz_f16_f32 v190, v204, v205                       // 0000000069A8: D29600BE 00039BCC
	v_cvt_pkrtz_f16_f32 v191, v206, v207                       // 0000000069B0: D29600BF 00039FCE
	ds_write_b64 v3, v[176:177] offset:22784                   // 0000000069B8: D89A5900 0000B003
	ds_write_b64 v3, v[178:179] offset:31488                   // 0000000069C0: D89A7B00 0000B203
	ds_write_b64 v3, v[180:181] offset:24960                   // 0000000069C8: D89A6180 0000B403
	ds_write_b64 v3, v[182:183] offset:33664                   // 0000000069D0: D89A8380 0000B603
	ds_write_b64 v3, v[184:185] offset:27136                   // 0000000069D8: D89A6A00 0000B803
	ds_write_b64 v3, v[186:187] offset:35840                   // 0000000069E0: D89A8C00 0000BA03
	ds_write_b64 v3, v[188:189] offset:29312                   // 0000000069E8: D89A7280 0000BC03
	ds_write_b64 v3, v[190:191] offset:38016                   // 0000000069F0: D89A9480 0000BE03
	s_waitcnt lgkmcnt(0)                                       // 0000000069F8: BF8CC07F
	s_barrier                                                  // 0000000069FC: BF8A0000
	ds_read_b32 v64, v4 offset:22784                           // 000000006A00: D86C5900 40000004
	ds_read_b32 v65, v4 offset:27136                           // 000000006A08: D86C6A00 41000004
	ds_read_b32 v66, v4 offset:22816                           // 000000006A10: D86C5920 42000004
	ds_read_b32 v67, v4 offset:27168                           // 000000006A18: D86C6A20 43000004
	ds_read_b32 v68, v4 offset:22848                           // 000000006A20: D86C5940 44000004
	ds_read_b32 v69, v4 offset:27200                           // 000000006A28: D86C6A40 45000004
	ds_read_b32 v70, v4 offset:22880                           // 000000006A30: D86C5960 46000004
	ds_read_b32 v71, v4 offset:27232                           // 000000006A38: D86C6A60 47000004
	ds_read_b32 v72, v4 offset:31488                           // 000000006A40: D86C7B00 48000004
	ds_read_b32 v73, v4 offset:35840                           // 000000006A48: D86C8C00 49000004
	ds_read_b32 v74, v4 offset:31520                           // 000000006A50: D86C7B20 4A000004
	ds_read_b32 v75, v4 offset:35872                           // 000000006A58: D86C8C20 4B000004
	ds_read_b32 v76, v4 offset:31552                           // 000000006A60: D86C7B40 4C000004
	ds_read_b32 v77, v4 offset:35904                           // 000000006A68: D86C8C40 4D000004
	ds_read_b32 v78, v4 offset:31584                           // 000000006A70: D86C7B60 4E000004
	ds_read_b32 v79, v4 offset:35936                           // 000000006A78: D86C8C60 4F000004
	s_waitcnt lgkmcnt(0)                                       // 000000006A80: BF8CC07F
	s_mov_b64 exec, s[20:21]                                   // 000000006A84: BEFE0114
	global_atomic_pk_add_f16 v80, v64, s[8:9]                  // 000000006A88: DD388000 00084050
	s_mov_b64 exec, s[36:37]                                   // 000000006A90: BEFE0124
	s_mov_b64 exec, s[20:21]                                   // 000000006A94: BEFE0114
	global_atomic_pk_add_f16 v80, v65, s[8:9] offset:256       // 000000006A98: DD388100 00084150
	s_mov_b64 exec, s[36:37]                                   // 000000006AA0: BEFE0124
	s_mov_b64 exec, s[22:23]                                   // 000000006AA4: BEFE0116
	global_atomic_pk_add_f16 v82, v66, s[8:9]                  // 000000006AA8: DD388000 00084252
	s_mov_b64 exec, s[36:37]                                   // 000000006AB0: BEFE0124
	s_mov_b64 exec, s[22:23]                                   // 000000006AB4: BEFE0116
	global_atomic_pk_add_f16 v82, v67, s[8:9] offset:256       // 000000006AB8: DD388100 00084352
	s_mov_b64 exec, s[36:37]                                   // 000000006AC0: BEFE0124
	s_mov_b64 exec, s[24:25]                                   // 000000006AC4: BEFE0118
	global_atomic_pk_add_f16 v84, v68, s[8:9]                  // 000000006AC8: DD388000 00084454
	s_mov_b64 exec, s[36:37]                                   // 000000006AD0: BEFE0124
	s_mov_b64 exec, s[24:25]                                   // 000000006AD4: BEFE0118
	global_atomic_pk_add_f16 v84, v69, s[8:9] offset:256       // 000000006AD8: DD388100 00084554
	s_mov_b64 exec, s[36:37]                                   // 000000006AE0: BEFE0124
	s_mov_b64 exec, s[26:27]                                   // 000000006AE4: BEFE011A
	global_atomic_pk_add_f16 v86, v70, s[8:9]                  // 000000006AE8: DD388000 00084656
	s_mov_b64 exec, s[36:37]                                   // 000000006AF0: BEFE0124
	s_mov_b64 exec, s[26:27]                                   // 000000006AF4: BEFE011A
	global_atomic_pk_add_f16 v86, v71, s[8:9] offset:256       // 000000006AF8: DD388100 00084756
	s_mov_b64 exec, s[36:37]                                   // 000000006B00: BEFE0124
	s_mov_b64 exec, s[28:29]                                   // 000000006B04: BEFE011C
	global_atomic_pk_add_f16 v88, v72, s[8:9]                  // 000000006B08: DD388000 00084858
	s_mov_b64 exec, s[36:37]                                   // 000000006B10: BEFE0124
	s_mov_b64 exec, s[28:29]                                   // 000000006B14: BEFE011C
	global_atomic_pk_add_f16 v88, v73, s[8:9] offset:256       // 000000006B18: DD388100 00084958
	s_mov_b64 exec, s[36:37]                                   // 000000006B20: BEFE0124
	s_mov_b64 exec, s[30:31]                                   // 000000006B24: BEFE011E
	global_atomic_pk_add_f16 v90, v74, s[8:9]                  // 000000006B28: DD388000 00084A5A
	s_mov_b64 exec, s[36:37]                                   // 000000006B30: BEFE0124
	s_mov_b64 exec, s[30:31]                                   // 000000006B34: BEFE011E
	global_atomic_pk_add_f16 v90, v75, s[8:9] offset:256       // 000000006B38: DD388100 00084B5A
	s_mov_b64 exec, s[36:37]                                   // 000000006B40: BEFE0124
	s_mov_b64 exec, s[32:33]                                   // 000000006B44: BEFE0120
	global_atomic_pk_add_f16 v92, v76, s[8:9]                  // 000000006B48: DD388000 00084C5C
	s_mov_b64 exec, s[36:37]                                   // 000000006B50: BEFE0124
	s_mov_b64 exec, s[32:33]                                   // 000000006B54: BEFE0120
	global_atomic_pk_add_f16 v92, v77, s[8:9] offset:256       // 000000006B58: DD388100 00084D5C
	s_mov_b64 exec, s[36:37]                                   // 000000006B60: BEFE0124
	s_mov_b64 exec, s[34:35]                                   // 000000006B64: BEFE0122
	global_atomic_pk_add_f16 v94, v78, s[8:9]                  // 000000006B68: DD388000 00084E5E
	s_mov_b64 exec, s[36:37]                                   // 000000006B70: BEFE0124
	s_mov_b64 exec, s[34:35]                                   // 000000006B74: BEFE0122
	global_atomic_pk_add_f16 v94, v79, s[8:9] offset:256       // 000000006B78: DD388100 00084F5E
	s_mov_b64 exec, s[36:37]                                   // 000000006B80: BEFE0124
	s_add_u32 s8, s59, s8                                      // 000000006B84: 8008083B
	s_addc_u32 s9, 0, s9                                       // 000000006B88: 82090980
	s_addk_i32 s80, 0x100                                      // 000000006B8C: B7500100
	s_cmp_lt_i32 s80, s81                                      // 000000006B90: BF045150
	s_cbranch_scc0 label_08E4                                  // 000000006B94: BF84F97E
	s_branch label_0CB4                                        // 000000006B98: BF82FD4D

0000000000006b9c <label_0F67>:
	s_waitcnt vmcnt(0) expcnt(0) lgkmcnt(0)                    // 000000006B9C: BF8C0000
	s_add_u32 s100, s100, 1                                    // 000000006BA0: 80648164
	s_cmp_eq_u32 s96, 0                                        // 000000006BA4: BF068060
	s_cbranch_scc0 label_0039                                  // 000000006BA8: BF84F0CE

0000000000006bac <label_0F6B>:
	s_waitcnt vmcnt(0) expcnt(0) lgkmcnt(0)                    // 000000006BAC: BF8C0000
	s_endpgm                                                   // 000000006BB0: BF810000
